;; amdgpu-corpus repo=ROCm/rocSPARSE kind=compiled arch=gfx90a opt=O3
	.text
	.amdgcn_target "amdgcn-amd-amdhsa--gfx90a"
	.amdhsa_code_object_version 6
	.section	.text._ZN9rocsparseL33gebsrmm_large_blockdim_kernel_extILi8ELi8ELi2EfEEv20rocsparse_direction_20rocsparse_operation_iiNS_24const_host_device_scalarIT2_EEPKiS7_PKS4_iiS9_lS5_PS4_l21rocsparse_index_base_b,"axG",@progbits,_ZN9rocsparseL33gebsrmm_large_blockdim_kernel_extILi8ELi8ELi2EfEEv20rocsparse_direction_20rocsparse_operation_iiNS_24const_host_device_scalarIT2_EEPKiS7_PKS4_iiS9_lS5_PS4_l21rocsparse_index_base_b,comdat
	.globl	_ZN9rocsparseL33gebsrmm_large_blockdim_kernel_extILi8ELi8ELi2EfEEv20rocsparse_direction_20rocsparse_operation_iiNS_24const_host_device_scalarIT2_EEPKiS7_PKS4_iiS9_lS5_PS4_l21rocsparse_index_base_b ; -- Begin function _ZN9rocsparseL33gebsrmm_large_blockdim_kernel_extILi8ELi8ELi2EfEEv20rocsparse_direction_20rocsparse_operation_iiNS_24const_host_device_scalarIT2_EEPKiS7_PKS4_iiS9_lS5_PS4_l21rocsparse_index_base_b
	.p2align	8
	.type	_ZN9rocsparseL33gebsrmm_large_blockdim_kernel_extILi8ELi8ELi2EfEEv20rocsparse_direction_20rocsparse_operation_iiNS_24const_host_device_scalarIT2_EEPKiS7_PKS4_iiS9_lS5_PS4_l21rocsparse_index_base_b,@function
_ZN9rocsparseL33gebsrmm_large_blockdim_kernel_extILi8ELi8ELi2EfEEv20rocsparse_direction_20rocsparse_operation_iiNS_24const_host_device_scalarIT2_EEPKiS7_PKS4_iiS9_lS5_PS4_l21rocsparse_index_base_b: ; @_ZN9rocsparseL33gebsrmm_large_blockdim_kernel_extILi8ELi8ELi2EfEEv20rocsparse_direction_20rocsparse_operation_iiNS_24const_host_device_scalarIT2_EEPKiS7_PKS4_iiS9_lS5_PS4_l21rocsparse_index_base_b
; %bb.0:
	s_load_dwordx2 s[26:27], s[4:5], 0x60
	s_load_dwordx2 s[24:25], s[4:5], 0x10
	s_load_dwordx4 s[16:19], s[4:5], 0x40
	s_waitcnt lgkmcnt(0)
	s_bitcmp1_b32 s27, 0
	s_cselect_b64 s[2:3], -1, 0
	s_xor_b64 s[0:1], s[2:3], -1
	s_and_b64 vcc, exec, s[2:3]
	s_cbranch_vccnz .LBB0_2
; %bb.1:
	s_load_dword s24, s[24:25], 0x0
.LBB0_2:
	s_andn2_b64 vcc, exec, s[0:1]
	s_cbranch_vccnz .LBB0_4
; %bb.3:
	s_load_dword s18, s[18:19], 0x0
.LBB0_4:
	s_waitcnt lgkmcnt(0)
	v_cmp_eq_f32_e64 s[0:1], s24, 0
	v_cmp_eq_f32_e64 s[2:3], s18, 1.0
	s_and_b64 s[0:1], s[0:1], s[2:3]
	s_mov_b32 s34, 0
	s_and_b64 vcc, exec, s[0:1]
	s_cbranch_vccnz .LBB0_54
; %bb.5:
	s_load_dwordx4 s[12:15], s[4:5], 0x0
	s_mov_b32 s19, 0
	s_waitcnt lgkmcnt(0)
	s_cmp_lt_i32 s6, s14
	s_cselect_b64 s[28:29], -1, 0
	s_cmp_ge_i32 s6, s14
	s_cbranch_scc1 .LBB0_7
; %bb.6:
	s_load_dwordx2 s[2:3], s[4:5], 0x18
	s_mov_b32 s0, s7
	s_ashr_i32 s7, s6, 31
	s_lshl_b64 s[8:9], s[6:7], 2
	s_mov_b32 s7, s0
	s_waitcnt lgkmcnt(0)
	s_add_u32 s0, s2, s8
	s_addc_u32 s1, s3, s9
	s_load_dwordx2 s[0:1], s[0:1], 0x0
	s_waitcnt lgkmcnt(0)
	s_sub_i32 s34, s0, s26
	s_sub_i32 s19, s1, s26
.LBB0_7:
	s_load_dwordx2 s[30:31], s[4:5], 0x50
	s_load_dwordx2 s[36:37], s[4:5], 0x30
	v_bfe_u32 v8, v0, 10, 10
	v_lshl_add_u32 v4, s7, 4, v8
	v_add_u32_e32 v2, 8, v4
	s_mov_b32 s14, 0
	v_cmp_gt_i32_e64 s[2:3], s15, v4
	v_cmp_gt_i32_e64 s[0:1], s15, v2
	v_and_b32_e32 v6, 0x3ff, v0
	s_mov_b32 s15, s14
	s_waitcnt lgkmcnt(0)
	v_cmp_gt_i32_e64 s[8:9], s36, v6
	s_cmp_ge_i32 s34, s19
	v_pk_mov_b32 v[0:1], s[14:15], s[14:15] op_sel:[0,1]
	s_cbranch_scc1 .LBB0_45
; %bb.8:
	v_cmp_gt_i32_e32 vcc, s37, v8
	s_and_b64 s[40:41], s[8:9], vcc
	s_cmpk_lg_i32 s13, 0x6f
	s_cselect_b64 s[50:51], -1, 0
	s_cmp_eq_u32 s12, 0
	v_mov_b32_e32 v9, 0x200
	v_mad_u64_u32 v[0:1], s[12:13], v8, s36, v[6:7]
	v_mad_u64_u32 v[10:11], s[12:13], v6, s37, v[8:9]
	s_cselect_b64 vcc, -1, 0
	s_cmp_gt_i32 s37, 0
	s_cselect_b64 s[12:13], -1, 0
	v_mad_u64_u32 v[12:13], s[42:43], v4, s16, 0
	v_mad_u64_u32 v[14:15], s[42:43], v2, s16, 0
	s_load_dwordx4 s[20:23], s[4:5], 0x20
	s_load_dwordx2 s[38:39], s[4:5], 0x38
	v_lshlrev_b32_e32 v3, 3, v8
	v_lshl_add_u32 v1, v6, 3, v8
	v_ashrrev_i32_e32 v5, 31, v4
	s_and_b64 s[42:43], s[2:3], s[12:13]
	s_and_b64 s[44:45], s[0:1], s[12:13]
	s_and_b32 s25, s37, 7
	v_lshl_add_u32 v7, v1, 2, v9
	v_add_lshl_u32 v20, v3, v6, 2
	v_ashrrev_i32_e32 v3, 31, v2
	v_mul_lo_u32 v1, v4, s17
	v_mul_lo_u32 v11, v5, s16
	s_cmp_gt_u32 s37, 7
	v_add3_u32 v13, v13, v1, v11
	v_mul_lo_u32 v1, v2, s17
	v_mul_lo_u32 v11, v3, s16
	s_cselect_b64 s[46:47], -1, 0
	s_and_b32 s27, s37, 0x7ffffff8
	v_add3_u32 v15, v15, v1, v11
	s_cmp_lg_u32 s25, 0
	v_lshlrev_b32_e32 v22, 5, v8
	v_cndmask_b32_e64 v8, 0, 1, s[50:51]
	s_mul_i32 s7, s37, s36
	v_cmp_gt_i32_e64 s[10:11], s37, v6
	v_cndmask_b32_e32 v21, v0, v10, vcc
	s_cselect_b64 s[48:49], -1, 0
	v_lshl_add_u32 v23, v6, 5, v9
	v_add_u32_e32 v24, 0x100, v22
	v_pk_mov_b32 v[0:1], s[14:15], s[14:15] op_sel:[0,1]
	v_cmp_ne_u32_e64 s[12:13], 1, v8
	v_lshlrev_b64 v[8:9], 2, v[4:5]
	v_lshlrev_b64 v[10:11], 2, v[2:3]
	;; [unrolled: 1-line block ×4, first 2 shown]
	s_branch .LBB0_11
.LBB0_9:                                ;   in Loop: Header=BB0_11 Depth=1
	s_or_b64 exec, exec, s[52:53]
.LBB0_10:                               ;   in Loop: Header=BB0_11 Depth=1
	s_or_b64 exec, exec, s[50:51]
	s_add_i32 s34, s34, 1
	s_cmp_ge_i32 s34, s19
	s_waitcnt lgkmcnt(0)
	; wave barrier
	s_cbranch_scc1 .LBB0_45
.LBB0_11:                               ; =>This Loop Header: Depth=1
                                        ;     Child Loop BB0_32 Depth 2
                                        ;     Child Loop BB0_36 Depth 2
	;; [unrolled: 1-line block ×4, first 2 shown]
	s_and_saveexec_b64 s[14:15], s[10:11]
	s_cbranch_execz .LBB0_26
; %bb.12:                               ;   in Loop: Header=BB0_11 Depth=1
	s_ashr_i32 s35, s34, 31
	s_lshl_b64 s[50:51], s[34:35], 2
	s_waitcnt lgkmcnt(0)
	s_add_u32 s50, s20, s50
	s_addc_u32 s51, s21, s51
	s_load_dword s33, s[50:51], 0x0
	s_and_b64 vcc, exec, s[12:13]
	s_waitcnt lgkmcnt(0)
	s_sub_i32 s33, s33, s26
	s_mul_i32 s33, s33, s37
	v_add_u32_e32 v16, s33, v6
	v_ashrrev_i32_e32 v17, 31, v16
	s_cbranch_vccnz .LBB0_18
; %bb.13:                               ;   in Loop: Header=BB0_11 Depth=1
	v_mul_lo_u32 v3, v17, s16
	v_mul_lo_u32 v5, v16, s17
	v_mad_u64_u32 v[18:19], s[50:51], v16, s16, 0
	v_add3_u32 v19, v19, v5, v3
	v_lshlrev_b64 v[18:19], 2, v[18:19]
	v_mov_b32_e32 v5, s39
	v_add_co_u32_e32 v3, vcc, s38, v18
	v_addc_co_u32_e32 v5, vcc, v5, v19, vcc
	s_and_saveexec_b64 s[50:51], s[2:3]
	s_cbranch_execz .LBB0_15
; %bb.14:                               ;   in Loop: Header=BB0_11 Depth=1
	v_add_co_u32_e32 v18, vcc, v3, v8
	v_addc_co_u32_e32 v19, vcc, v5, v9, vcc
	global_load_dword v18, v[18:19], off
	s_waitcnt vmcnt(0)
	ds_write_b32 v20, v18
.LBB0_15:                               ;   in Loop: Header=BB0_11 Depth=1
	s_or_b64 exec, exec, s[50:51]
	s_mov_b64 s[52:53], 0
	s_mov_b64 s[50:51], 0
                                        ; implicit-def: $vgpr18_vgpr19
	s_and_saveexec_b64 s[54:55], s[0:1]
	s_xor_b64 s[54:55], exec, s[54:55]
; %bb.16:                               ;   in Loop: Header=BB0_11 Depth=1
	v_add_co_u32_e32 v18, vcc, v3, v10
	s_mov_b64 s[50:51], exec
	v_addc_co_u32_e32 v19, vcc, v5, v11, vcc
; %bb.17:                               ;   in Loop: Header=BB0_11 Depth=1
	s_or_b64 exec, exec, s[54:55]
	s_and_b64 vcc, exec, s[52:53]
	s_cbranch_vccnz .LBB0_19
	s_branch .LBB0_24
.LBB0_18:                               ;   in Loop: Header=BB0_11 Depth=1
	s_mov_b64 s[50:51], 0
                                        ; implicit-def: $vgpr18_vgpr19
	s_cbranch_execz .LBB0_24
.LBB0_19:                               ;   in Loop: Header=BB0_11 Depth=1
	v_lshlrev_b64 v[16:17], 2, v[16:17]
	v_mov_b32_e32 v5, s39
	v_add_co_u32_e32 v3, vcc, s38, v16
	v_addc_co_u32_e32 v5, vcc, v5, v17, vcc
	s_and_saveexec_b64 s[52:53], s[2:3]
	s_cbranch_execz .LBB0_21
; %bb.20:                               ;   in Loop: Header=BB0_11 Depth=1
	v_add_co_u32_e32 v16, vcc, v3, v12
	v_addc_co_u32_e32 v17, vcc, v5, v13, vcc
	global_load_dword v16, v[16:17], off
	s_waitcnt vmcnt(0)
	ds_write_b32 v20, v16
.LBB0_21:                               ;   in Loop: Header=BB0_11 Depth=1
	s_or_b64 exec, exec, s[52:53]
                                        ; implicit-def: $vgpr18_vgpr19
	s_and_saveexec_b64 s[52:53], s[0:1]
; %bb.22:                               ;   in Loop: Header=BB0_11 Depth=1
	v_add_co_u32_e32 v18, vcc, v3, v14
	v_addc_co_u32_e32 v19, vcc, v5, v15, vcc
	s_or_b64 s[50:51], s[50:51], exec
; %bb.23:                               ;   in Loop: Header=BB0_11 Depth=1
	s_or_b64 exec, exec, s[52:53]
.LBB0_24:                               ;   in Loop: Header=BB0_11 Depth=1
	s_and_b64 exec, exec, s[50:51]
	s_cbranch_execz .LBB0_26
; %bb.25:                               ;   in Loop: Header=BB0_11 Depth=1
	global_load_dword v3, v[18:19], off
	s_waitcnt vmcnt(0)
	ds_write_b32 v20, v3 offset:256
.LBB0_26:                               ;   in Loop: Header=BB0_11 Depth=1
	s_or_b64 exec, exec, s[14:15]
	s_and_saveexec_b64 s[14:15], s[40:41]
	s_cbranch_execz .LBB0_28
; %bb.27:                               ;   in Loop: Header=BB0_11 Depth=1
	s_mul_i32 s33, s7, s34
	v_add_u32_e32 v16, s33, v21
	v_ashrrev_i32_e32 v17, 31, v16
	v_lshlrev_b64 v[16:17], 2, v[16:17]
	s_waitcnt lgkmcnt(0)
	v_mov_b32_e32 v3, s23
	v_add_co_u32_e32 v16, vcc, s22, v16
	v_addc_co_u32_e32 v17, vcc, v3, v17, vcc
	global_load_dword v3, v[16:17], off
	s_waitcnt vmcnt(0)
	ds_write_b32 v7, v3
.LBB0_28:                               ;   in Loop: Header=BB0_11 Depth=1
	s_or_b64 exec, exec, s[14:15]
	s_waitcnt lgkmcnt(0)
	; wave barrier
	s_waitcnt lgkmcnt(0)
	s_and_saveexec_b64 s[50:51], s[8:9]
	s_cbranch_execz .LBB0_10
; %bb.29:                               ;   in Loop: Header=BB0_11 Depth=1
	v_cndmask_b32_e64 v3, 0, 1, s[46:47]
	v_cmp_ne_u32_e64 s[14:15], 1, v3
	s_and_saveexec_b64 s[52:53], s[42:43]
	s_cbranch_execz .LBB0_37
; %bb.30:                               ;   in Loop: Header=BB0_11 Depth=1
	s_mov_b32 s33, 0
	s_and_b64 vcc, exec, s[14:15]
	s_cbranch_vccnz .LBB0_34
; %bb.31:                               ;   in Loop: Header=BB0_11 Depth=1
	v_mov_b32_e32 v3, v23
	v_mov_b32_e32 v5, v22
.LBB0_32:                               ;   Parent Loop BB0_11 Depth=1
                                        ; =>  This Inner Loop Header: Depth=2
	ds_read_b128 v[16:19], v3
	ds_read_b128 v[26:29], v3 offset:16
	ds_read_b128 v[30:33], v5
	ds_read_b128 v[34:37], v5 offset:16
	s_add_i32 s33, s33, 8
	v_add_u32_e32 v5, 32, v5
	v_add_u32_e32 v3, 32, v3
	s_waitcnt lgkmcnt(1)
	v_fma_f32 v0, v16, v30, v0
	v_fmac_f32_e32 v0, v17, v31
	v_fmac_f32_e32 v0, v18, v32
	;; [unrolled: 1-line block ×3, first 2 shown]
	s_waitcnt lgkmcnt(0)
	v_fmac_f32_e32 v0, v26, v34
	v_fmac_f32_e32 v0, v27, v35
	;; [unrolled: 1-line block ×3, first 2 shown]
	s_cmp_lg_u32 s27, s33
	v_fmac_f32_e32 v0, v29, v37
	s_cbranch_scc1 .LBB0_32
; %bb.33:                               ;   in Loop: Header=BB0_11 Depth=1
	s_mov_b32 s33, s27
.LBB0_34:                               ;   in Loop: Header=BB0_11 Depth=1
	s_andn2_b64 vcc, exec, s[48:49]
	s_cbranch_vccnz .LBB0_37
; %bb.35:                               ;   in Loop: Header=BB0_11 Depth=1
	s_lshl_b32 s33, s33, 2
	v_add_u32_e32 v3, s33, v22
	v_add_u32_e32 v5, s33, v23
	s_mov_b32 s33, s25
.LBB0_36:                               ;   Parent Loop BB0_11 Depth=1
                                        ; =>  This Inner Loop Header: Depth=2
	ds_read_b32 v16, v5
	ds_read_b32 v17, v3
	s_add_i32 s33, s33, -1
	v_add_u32_e32 v3, 4, v3
	v_add_u32_e32 v5, 4, v5
	s_cmp_lg_u32 s33, 0
	s_waitcnt lgkmcnt(0)
	v_fma_f32 v0, v16, v17, v0
	s_cbranch_scc1 .LBB0_36
.LBB0_37:                               ;   in Loop: Header=BB0_11 Depth=1
	s_or_b64 exec, exec, s[52:53]
	s_and_saveexec_b64 s[52:53], s[44:45]
	s_cbranch_execz .LBB0_9
; %bb.38:                               ;   in Loop: Header=BB0_11 Depth=1
	s_and_b64 vcc, exec, s[14:15]
	s_cbranch_vccnz .LBB0_42
; %bb.39:                               ;   in Loop: Header=BB0_11 Depth=1
	s_mov_b32 s14, 0
	v_mov_b32_e32 v3, v23
	v_mov_b32_e32 v5, v24
.LBB0_40:                               ;   Parent Loop BB0_11 Depth=1
                                        ; =>  This Inner Loop Header: Depth=2
	ds_read_b128 v[16:19], v3
	ds_read_b128 v[26:29], v3 offset:16
	ds_read_b128 v[30:33], v5
	ds_read_b128 v[34:37], v5 offset:16
	s_add_i32 s14, s14, 8
	v_add_u32_e32 v5, 32, v5
	v_add_u32_e32 v3, 32, v3
	s_waitcnt lgkmcnt(1)
	v_fma_f32 v1, v16, v30, v1
	v_fmac_f32_e32 v1, v17, v31
	v_fmac_f32_e32 v1, v18, v32
	;; [unrolled: 1-line block ×3, first 2 shown]
	s_waitcnt lgkmcnt(0)
	v_fmac_f32_e32 v1, v26, v34
	v_fmac_f32_e32 v1, v27, v35
	;; [unrolled: 1-line block ×3, first 2 shown]
	s_cmp_lg_u32 s27, s14
	v_fmac_f32_e32 v1, v29, v37
	s_cbranch_scc1 .LBB0_40
; %bb.41:                               ;   in Loop: Header=BB0_11 Depth=1
	s_mov_b32 s14, s27
	s_andn2_b64 vcc, exec, s[48:49]
	s_cbranch_vccz .LBB0_43
	s_branch .LBB0_9
.LBB0_42:                               ;   in Loop: Header=BB0_11 Depth=1
	s_mov_b32 s14, 0
	s_andn2_b64 vcc, exec, s[48:49]
	s_cbranch_vccnz .LBB0_9
.LBB0_43:                               ;   in Loop: Header=BB0_11 Depth=1
	s_lshl_b32 s14, s14, 2
	v_add_u32_e32 v3, s14, v24
	v_add_u32_e32 v5, s14, v23
	s_mov_b32 s14, s25
.LBB0_44:                               ;   Parent Loop BB0_11 Depth=1
                                        ; =>  This Inner Loop Header: Depth=2
	ds_read_b32 v16, v5
	ds_read_b32 v17, v3
	s_add_i32 s14, s14, -1
	v_add_u32_e32 v3, 4, v3
	v_add_u32_e32 v5, 4, v5
	s_cmp_lg_u32 s14, 0
	s_waitcnt lgkmcnt(0)
	v_fma_f32 v1, v16, v17, v1
	s_cbranch_scc1 .LBB0_44
	s_branch .LBB0_9
.LBB0_45:
	s_and_b64 s[8:9], s[28:29], s[8:9]
	s_and_saveexec_b64 s[10:11], s[8:9]
	s_cbranch_execz .LBB0_54
; %bb.46:
	s_mul_i32 s6, s6, s36
	v_add_u32_e32 v6, s6, v6
	s_load_dwordx2 s[4:5], s[4:5], 0x58
	v_ashrrev_i32_e32 v7, 31, v6
	v_lshlrev_b64 v[6:7], 2, v[6:7]
	v_mov_b32_e32 v5, s31
	v_add_co_u32_e32 v3, vcc, s30, v6
	v_cmp_neq_f32_e64 s[6:7], s18, 0
	v_addc_co_u32_e32 v5, vcc, v5, v7, vcc
	s_and_saveexec_b64 s[8:9], s[2:3]
	s_cbranch_execz .LBB0_50
; %bb.47:
	v_ashrrev_i32_e32 v7, 31, v4
	s_and_b64 vcc, exec, s[6:7]
	s_waitcnt lgkmcnt(0)
	v_mul_lo_u32 v6, v4, s5
	v_mul_lo_u32 v7, v7, s4
	v_mul_f32_e32 v0, s24, v0
	s_cbranch_vccz .LBB0_55
; %bb.48:
	v_mad_u64_u32 v[8:9], s[2:3], v4, s4, 0
	v_add3_u32 v9, v9, v6, v7
	v_lshlrev_b64 v[8:9], 2, v[8:9]
	v_add_co_u32_e32 v8, vcc, v3, v8
	v_addc_co_u32_e32 v9, vcc, v5, v9, vcc
	global_load_dword v10, v[8:9], off
	s_waitcnt vmcnt(0)
	v_fma_f32 v10, s18, v10, v0
	global_store_dword v[8:9], v10, off
	s_cbranch_execnz .LBB0_50
.LBB0_49:
	v_mad_u64_u32 v[8:9], s[2:3], v4, s4, 0
	v_add3_u32 v9, v9, v6, v7
	v_lshlrev_b64 v[6:7], 2, v[8:9]
	v_add_co_u32_e32 v6, vcc, v3, v6
	v_addc_co_u32_e32 v7, vcc, v5, v7, vcc
	global_store_dword v[6:7], v0, off
.LBB0_50:
	s_or_b64 exec, exec, s[8:9]
	s_and_b64 exec, exec, s[0:1]
	s_cbranch_execz .LBB0_54
; %bb.51:
	v_ashrrev_i32_e32 v0, 31, v2
	s_andn2_b64 vcc, exec, s[6:7]
	s_waitcnt lgkmcnt(0)
	v_mul_lo_u32 v4, v2, s5
	v_mul_lo_u32 v6, v0, s4
	v_mul_f32_e32 v0, s24, v1
	s_cbranch_vccnz .LBB0_56
; %bb.52:
	v_mad_u64_u32 v[8:9], s[0:1], v2, s4, 0
	v_add3_u32 v9, v9, v4, v6
	v_lshlrev_b64 v[8:9], 2, v[8:9]
	v_add_co_u32_e32 v8, vcc, v3, v8
	v_addc_co_u32_e32 v9, vcc, v5, v9, vcc
	global_load_dword v1, v[8:9], off
	s_waitcnt vmcnt(0)
	v_fma_f32 v1, s18, v1, v0
	global_store_dword v[8:9], v1, off
	s_cbranch_execnz .LBB0_54
.LBB0_53:
	v_mad_u64_u32 v[8:9], s[0:1], v2, s4, 0
	v_add3_u32 v9, v9, v4, v6
	v_lshlrev_b64 v[6:7], 2, v[8:9]
	v_add_co_u32_e32 v2, vcc, v3, v6
	v_addc_co_u32_e32 v3, vcc, v5, v7, vcc
	global_store_dword v[2:3], v0, off
.LBB0_54:
	s_endpgm
.LBB0_55:
	s_branch .LBB0_49
.LBB0_56:
	s_branch .LBB0_53
	.section	.rodata,"a",@progbits
	.p2align	6, 0x0
	.amdhsa_kernel _ZN9rocsparseL33gebsrmm_large_blockdim_kernel_extILi8ELi8ELi2EfEEv20rocsparse_direction_20rocsparse_operation_iiNS_24const_host_device_scalarIT2_EEPKiS7_PKS4_iiS9_lS5_PS4_l21rocsparse_index_base_b
		.amdhsa_group_segment_fixed_size 768
		.amdhsa_private_segment_fixed_size 0
		.amdhsa_kernarg_size 104
		.amdhsa_user_sgpr_count 6
		.amdhsa_user_sgpr_private_segment_buffer 1
		.amdhsa_user_sgpr_dispatch_ptr 0
		.amdhsa_user_sgpr_queue_ptr 0
		.amdhsa_user_sgpr_kernarg_segment_ptr 1
		.amdhsa_user_sgpr_dispatch_id 0
		.amdhsa_user_sgpr_flat_scratch_init 0
		.amdhsa_user_sgpr_kernarg_preload_length 0
		.amdhsa_user_sgpr_kernarg_preload_offset 0
		.amdhsa_user_sgpr_private_segment_size 0
		.amdhsa_uses_dynamic_stack 0
		.amdhsa_system_sgpr_private_segment_wavefront_offset 0
		.amdhsa_system_sgpr_workgroup_id_x 1
		.amdhsa_system_sgpr_workgroup_id_y 1
		.amdhsa_system_sgpr_workgroup_id_z 0
		.amdhsa_system_sgpr_workgroup_info 0
		.amdhsa_system_vgpr_workitem_id 1
		.amdhsa_next_free_vgpr 38
		.amdhsa_next_free_sgpr 56
		.amdhsa_accum_offset 40
		.amdhsa_reserve_vcc 1
		.amdhsa_reserve_flat_scratch 0
		.amdhsa_float_round_mode_32 0
		.amdhsa_float_round_mode_16_64 0
		.amdhsa_float_denorm_mode_32 3
		.amdhsa_float_denorm_mode_16_64 3
		.amdhsa_dx10_clamp 1
		.amdhsa_ieee_mode 1
		.amdhsa_fp16_overflow 0
		.amdhsa_tg_split 0
		.amdhsa_exception_fp_ieee_invalid_op 0
		.amdhsa_exception_fp_denorm_src 0
		.amdhsa_exception_fp_ieee_div_zero 0
		.amdhsa_exception_fp_ieee_overflow 0
		.amdhsa_exception_fp_ieee_underflow 0
		.amdhsa_exception_fp_ieee_inexact 0
		.amdhsa_exception_int_div_zero 0
	.end_amdhsa_kernel
	.section	.text._ZN9rocsparseL33gebsrmm_large_blockdim_kernel_extILi8ELi8ELi2EfEEv20rocsparse_direction_20rocsparse_operation_iiNS_24const_host_device_scalarIT2_EEPKiS7_PKS4_iiS9_lS5_PS4_l21rocsparse_index_base_b,"axG",@progbits,_ZN9rocsparseL33gebsrmm_large_blockdim_kernel_extILi8ELi8ELi2EfEEv20rocsparse_direction_20rocsparse_operation_iiNS_24const_host_device_scalarIT2_EEPKiS7_PKS4_iiS9_lS5_PS4_l21rocsparse_index_base_b,comdat
.Lfunc_end0:
	.size	_ZN9rocsparseL33gebsrmm_large_blockdim_kernel_extILi8ELi8ELi2EfEEv20rocsparse_direction_20rocsparse_operation_iiNS_24const_host_device_scalarIT2_EEPKiS7_PKS4_iiS9_lS5_PS4_l21rocsparse_index_base_b, .Lfunc_end0-_ZN9rocsparseL33gebsrmm_large_blockdim_kernel_extILi8ELi8ELi2EfEEv20rocsparse_direction_20rocsparse_operation_iiNS_24const_host_device_scalarIT2_EEPKiS7_PKS4_iiS9_lS5_PS4_l21rocsparse_index_base_b
                                        ; -- End function
	.section	.AMDGPU.csdata,"",@progbits
; Kernel info:
; codeLenInByte = 1836
; NumSgprs: 60
; NumVgprs: 38
; NumAgprs: 0
; TotalNumVgprs: 38
; ScratchSize: 0
; MemoryBound: 0
; FloatMode: 240
; IeeeMode: 1
; LDSByteSize: 768 bytes/workgroup (compile time only)
; SGPRBlocks: 7
; VGPRBlocks: 4
; NumSGPRsForWavesPerEU: 60
; NumVGPRsForWavesPerEU: 38
; AccumOffset: 40
; Occupancy: 8
; WaveLimiterHint : 1
; COMPUTE_PGM_RSRC2:SCRATCH_EN: 0
; COMPUTE_PGM_RSRC2:USER_SGPR: 6
; COMPUTE_PGM_RSRC2:TRAP_HANDLER: 0
; COMPUTE_PGM_RSRC2:TGID_X_EN: 1
; COMPUTE_PGM_RSRC2:TGID_Y_EN: 1
; COMPUTE_PGM_RSRC2:TGID_Z_EN: 0
; COMPUTE_PGM_RSRC2:TIDIG_COMP_CNT: 1
; COMPUTE_PGM_RSRC3_GFX90A:ACCUM_OFFSET: 9
; COMPUTE_PGM_RSRC3_GFX90A:TG_SPLIT: 0
	.section	.text._ZN9rocsparseL33gebsrmm_large_blockdim_kernel_extILi16ELi16ELi2EfEEv20rocsparse_direction_20rocsparse_operation_iiNS_24const_host_device_scalarIT2_EEPKiS7_PKS4_iiS9_lS5_PS4_l21rocsparse_index_base_b,"axG",@progbits,_ZN9rocsparseL33gebsrmm_large_blockdim_kernel_extILi16ELi16ELi2EfEEv20rocsparse_direction_20rocsparse_operation_iiNS_24const_host_device_scalarIT2_EEPKiS7_PKS4_iiS9_lS5_PS4_l21rocsparse_index_base_b,comdat
	.globl	_ZN9rocsparseL33gebsrmm_large_blockdim_kernel_extILi16ELi16ELi2EfEEv20rocsparse_direction_20rocsparse_operation_iiNS_24const_host_device_scalarIT2_EEPKiS7_PKS4_iiS9_lS5_PS4_l21rocsparse_index_base_b ; -- Begin function _ZN9rocsparseL33gebsrmm_large_blockdim_kernel_extILi16ELi16ELi2EfEEv20rocsparse_direction_20rocsparse_operation_iiNS_24const_host_device_scalarIT2_EEPKiS7_PKS4_iiS9_lS5_PS4_l21rocsparse_index_base_b
	.p2align	8
	.type	_ZN9rocsparseL33gebsrmm_large_blockdim_kernel_extILi16ELi16ELi2EfEEv20rocsparse_direction_20rocsparse_operation_iiNS_24const_host_device_scalarIT2_EEPKiS7_PKS4_iiS9_lS5_PS4_l21rocsparse_index_base_b,@function
_ZN9rocsparseL33gebsrmm_large_blockdim_kernel_extILi16ELi16ELi2EfEEv20rocsparse_direction_20rocsparse_operation_iiNS_24const_host_device_scalarIT2_EEPKiS7_PKS4_iiS9_lS5_PS4_l21rocsparse_index_base_b: ; @_ZN9rocsparseL33gebsrmm_large_blockdim_kernel_extILi16ELi16ELi2EfEEv20rocsparse_direction_20rocsparse_operation_iiNS_24const_host_device_scalarIT2_EEPKiS7_PKS4_iiS9_lS5_PS4_l21rocsparse_index_base_b
; %bb.0:
	s_load_dwordx2 s[26:27], s[4:5], 0x60
	s_load_dwordx2 s[24:25], s[4:5], 0x10
	s_load_dwordx4 s[16:19], s[4:5], 0x40
	s_waitcnt lgkmcnt(0)
	s_bitcmp1_b32 s27, 0
	s_cselect_b64 s[2:3], -1, 0
	s_xor_b64 s[0:1], s[2:3], -1
	s_and_b64 vcc, exec, s[2:3]
	s_cbranch_vccnz .LBB1_2
; %bb.1:
	s_load_dword s24, s[24:25], 0x0
.LBB1_2:
	s_andn2_b64 vcc, exec, s[0:1]
	s_cbranch_vccnz .LBB1_4
; %bb.3:
	s_load_dword s18, s[18:19], 0x0
.LBB1_4:
	s_waitcnt lgkmcnt(0)
	v_cmp_eq_f32_e64 s[0:1], s24, 0
	v_cmp_eq_f32_e64 s[2:3], s18, 1.0
	s_and_b64 s[0:1], s[0:1], s[2:3]
	s_mov_b32 s34, 0
	s_and_b64 vcc, exec, s[0:1]
	s_cbranch_vccnz .LBB1_54
; %bb.5:
	s_load_dwordx4 s[12:15], s[4:5], 0x0
	s_mov_b32 s19, 0
	s_waitcnt lgkmcnt(0)
	s_cmp_lt_i32 s6, s14
	s_cselect_b64 s[28:29], -1, 0
	s_cmp_ge_i32 s6, s14
	s_cbranch_scc1 .LBB1_7
; %bb.6:
	s_load_dwordx2 s[2:3], s[4:5], 0x18
	s_mov_b32 s0, s7
	s_ashr_i32 s7, s6, 31
	s_lshl_b64 s[8:9], s[6:7], 2
	s_mov_b32 s7, s0
	s_waitcnt lgkmcnt(0)
	s_add_u32 s0, s2, s8
	s_addc_u32 s1, s3, s9
	s_load_dwordx2 s[0:1], s[0:1], 0x0
	s_waitcnt lgkmcnt(0)
	s_sub_i32 s34, s0, s26
	s_sub_i32 s19, s1, s26
.LBB1_7:
	s_load_dwordx2 s[30:31], s[4:5], 0x50
	s_load_dwordx2 s[36:37], s[4:5], 0x30
	v_bfe_u32 v8, v0, 10, 10
	v_lshl_add_u32 v4, s7, 5, v8
	v_add_u32_e32 v2, 16, v4
	s_mov_b32 s14, 0
	v_cmp_gt_i32_e64 s[2:3], s15, v4
	v_cmp_gt_i32_e64 s[0:1], s15, v2
	v_and_b32_e32 v6, 0x3ff, v0
	s_mov_b32 s15, s14
	s_waitcnt lgkmcnt(0)
	v_cmp_gt_i32_e64 s[8:9], s36, v6
	s_cmp_ge_i32 s34, s19
	v_pk_mov_b32 v[0:1], s[14:15], s[14:15] op_sel:[0,1]
	s_cbranch_scc1 .LBB1_45
; %bb.8:
	v_cmp_gt_i32_e32 vcc, s37, v8
	s_and_b64 s[40:41], s[8:9], vcc
	s_cmpk_lg_i32 s13, 0x6f
	s_cselect_b64 s[50:51], -1, 0
	s_cmp_eq_u32 s12, 0
	v_mov_b32_e32 v9, 0x800
	v_mad_u64_u32 v[0:1], s[12:13], v8, s36, v[6:7]
	v_mad_u64_u32 v[10:11], s[12:13], v6, s37, v[8:9]
	s_cselect_b64 vcc, -1, 0
	s_cmp_gt_i32 s37, 0
	s_cselect_b64 s[12:13], -1, 0
	v_mad_u64_u32 v[12:13], s[42:43], v4, s16, 0
	v_mad_u64_u32 v[14:15], s[42:43], v2, s16, 0
	s_load_dwordx4 s[20:23], s[4:5], 0x20
	s_load_dwordx2 s[38:39], s[4:5], 0x38
	v_lshlrev_b32_e32 v3, 4, v8
	v_lshl_add_u32 v1, v6, 4, v8
	v_ashrrev_i32_e32 v5, 31, v4
	s_and_b64 s[42:43], s[2:3], s[12:13]
	s_and_b64 s[44:45], s[0:1], s[12:13]
	s_and_b32 s25, s37, 7
	v_lshl_add_u32 v7, v1, 2, v9
	v_add_lshl_u32 v20, v3, v6, 2
	v_ashrrev_i32_e32 v3, 31, v2
	v_mul_lo_u32 v1, v4, s17
	v_mul_lo_u32 v11, v5, s16
	s_cmp_gt_u32 s37, 7
	v_add3_u32 v13, v13, v1, v11
	v_mul_lo_u32 v1, v2, s17
	v_mul_lo_u32 v11, v3, s16
	s_cselect_b64 s[46:47], -1, 0
	s_and_b32 s27, s37, 0x7ffffff8
	v_add3_u32 v15, v15, v1, v11
	s_cmp_lg_u32 s25, 0
	v_lshlrev_b32_e32 v22, 6, v8
	v_cndmask_b32_e64 v8, 0, 1, s[50:51]
	s_mul_i32 s7, s37, s36
	v_cmp_gt_i32_e64 s[10:11], s37, v6
	v_cndmask_b32_e32 v21, v0, v10, vcc
	s_cselect_b64 s[48:49], -1, 0
	v_lshl_add_u32 v23, v6, 6, v9
	v_add_u32_e32 v24, 0x400, v22
	v_pk_mov_b32 v[0:1], s[14:15], s[14:15] op_sel:[0,1]
	v_cmp_ne_u32_e64 s[12:13], 1, v8
	v_lshlrev_b64 v[8:9], 2, v[4:5]
	v_lshlrev_b64 v[10:11], 2, v[2:3]
	;; [unrolled: 1-line block ×4, first 2 shown]
	s_branch .LBB1_11
.LBB1_9:                                ;   in Loop: Header=BB1_11 Depth=1
	s_or_b64 exec, exec, s[52:53]
.LBB1_10:                               ;   in Loop: Header=BB1_11 Depth=1
	s_or_b64 exec, exec, s[50:51]
	s_add_i32 s34, s34, 1
	s_cmp_ge_i32 s34, s19
	s_barrier
	s_cbranch_scc1 .LBB1_45
.LBB1_11:                               ; =>This Loop Header: Depth=1
                                        ;     Child Loop BB1_32 Depth 2
                                        ;     Child Loop BB1_36 Depth 2
	;; [unrolled: 1-line block ×4, first 2 shown]
	s_and_saveexec_b64 s[14:15], s[10:11]
	s_cbranch_execz .LBB1_26
; %bb.12:                               ;   in Loop: Header=BB1_11 Depth=1
	s_ashr_i32 s35, s34, 31
	s_lshl_b64 s[50:51], s[34:35], 2
	s_waitcnt lgkmcnt(0)
	s_add_u32 s50, s20, s50
	s_addc_u32 s51, s21, s51
	s_load_dword s33, s[50:51], 0x0
	s_and_b64 vcc, exec, s[12:13]
	s_waitcnt lgkmcnt(0)
	s_sub_i32 s33, s33, s26
	s_mul_i32 s33, s33, s37
	v_add_u32_e32 v16, s33, v6
	v_ashrrev_i32_e32 v17, 31, v16
	s_cbranch_vccnz .LBB1_18
; %bb.13:                               ;   in Loop: Header=BB1_11 Depth=1
	v_mul_lo_u32 v3, v17, s16
	v_mul_lo_u32 v5, v16, s17
	v_mad_u64_u32 v[18:19], s[50:51], v16, s16, 0
	v_add3_u32 v19, v19, v5, v3
	v_lshlrev_b64 v[18:19], 2, v[18:19]
	v_mov_b32_e32 v5, s39
	v_add_co_u32_e32 v3, vcc, s38, v18
	v_addc_co_u32_e32 v5, vcc, v5, v19, vcc
	s_and_saveexec_b64 s[50:51], s[2:3]
	s_cbranch_execz .LBB1_15
; %bb.14:                               ;   in Loop: Header=BB1_11 Depth=1
	v_add_co_u32_e32 v18, vcc, v3, v8
	v_addc_co_u32_e32 v19, vcc, v5, v9, vcc
	global_load_dword v18, v[18:19], off
	s_waitcnt vmcnt(0)
	ds_write_b32 v20, v18
.LBB1_15:                               ;   in Loop: Header=BB1_11 Depth=1
	s_or_b64 exec, exec, s[50:51]
	s_mov_b64 s[52:53], 0
	s_mov_b64 s[50:51], 0
                                        ; implicit-def: $vgpr18_vgpr19
	s_and_saveexec_b64 s[54:55], s[0:1]
	s_xor_b64 s[54:55], exec, s[54:55]
; %bb.16:                               ;   in Loop: Header=BB1_11 Depth=1
	v_add_co_u32_e32 v18, vcc, v3, v10
	s_mov_b64 s[50:51], exec
	v_addc_co_u32_e32 v19, vcc, v5, v11, vcc
; %bb.17:                               ;   in Loop: Header=BB1_11 Depth=1
	s_or_b64 exec, exec, s[54:55]
	s_and_b64 vcc, exec, s[52:53]
	s_cbranch_vccnz .LBB1_19
	s_branch .LBB1_24
.LBB1_18:                               ;   in Loop: Header=BB1_11 Depth=1
	s_mov_b64 s[50:51], 0
                                        ; implicit-def: $vgpr18_vgpr19
	s_cbranch_execz .LBB1_24
.LBB1_19:                               ;   in Loop: Header=BB1_11 Depth=1
	v_lshlrev_b64 v[16:17], 2, v[16:17]
	v_mov_b32_e32 v5, s39
	v_add_co_u32_e32 v3, vcc, s38, v16
	v_addc_co_u32_e32 v5, vcc, v5, v17, vcc
	s_and_saveexec_b64 s[52:53], s[2:3]
	s_cbranch_execz .LBB1_21
; %bb.20:                               ;   in Loop: Header=BB1_11 Depth=1
	v_add_co_u32_e32 v16, vcc, v3, v12
	v_addc_co_u32_e32 v17, vcc, v5, v13, vcc
	global_load_dword v16, v[16:17], off
	s_waitcnt vmcnt(0)
	ds_write_b32 v20, v16
.LBB1_21:                               ;   in Loop: Header=BB1_11 Depth=1
	s_or_b64 exec, exec, s[52:53]
                                        ; implicit-def: $vgpr18_vgpr19
	s_and_saveexec_b64 s[52:53], s[0:1]
; %bb.22:                               ;   in Loop: Header=BB1_11 Depth=1
	v_add_co_u32_e32 v18, vcc, v3, v14
	v_addc_co_u32_e32 v19, vcc, v5, v15, vcc
	s_or_b64 s[50:51], s[50:51], exec
; %bb.23:                               ;   in Loop: Header=BB1_11 Depth=1
	s_or_b64 exec, exec, s[52:53]
.LBB1_24:                               ;   in Loop: Header=BB1_11 Depth=1
	s_and_b64 exec, exec, s[50:51]
	s_cbranch_execz .LBB1_26
; %bb.25:                               ;   in Loop: Header=BB1_11 Depth=1
	global_load_dword v3, v[18:19], off
	s_waitcnt vmcnt(0)
	ds_write_b32 v20, v3 offset:1024
.LBB1_26:                               ;   in Loop: Header=BB1_11 Depth=1
	s_or_b64 exec, exec, s[14:15]
	s_and_saveexec_b64 s[14:15], s[40:41]
	s_cbranch_execz .LBB1_28
; %bb.27:                               ;   in Loop: Header=BB1_11 Depth=1
	s_mul_i32 s33, s7, s34
	v_add_u32_e32 v16, s33, v21
	v_ashrrev_i32_e32 v17, 31, v16
	v_lshlrev_b64 v[16:17], 2, v[16:17]
	s_waitcnt lgkmcnt(0)
	v_mov_b32_e32 v3, s23
	v_add_co_u32_e32 v16, vcc, s22, v16
	v_addc_co_u32_e32 v17, vcc, v3, v17, vcc
	global_load_dword v3, v[16:17], off
	s_waitcnt vmcnt(0)
	ds_write_b32 v7, v3
.LBB1_28:                               ;   in Loop: Header=BB1_11 Depth=1
	s_or_b64 exec, exec, s[14:15]
	s_waitcnt lgkmcnt(0)
	s_barrier
	s_and_saveexec_b64 s[50:51], s[8:9]
	s_cbranch_execz .LBB1_10
; %bb.29:                               ;   in Loop: Header=BB1_11 Depth=1
	v_cndmask_b32_e64 v3, 0, 1, s[46:47]
	v_cmp_ne_u32_e64 s[14:15], 1, v3
	s_and_saveexec_b64 s[52:53], s[42:43]
	s_cbranch_execz .LBB1_37
; %bb.30:                               ;   in Loop: Header=BB1_11 Depth=1
	s_mov_b32 s33, 0
	s_and_b64 vcc, exec, s[14:15]
	s_cbranch_vccnz .LBB1_34
; %bb.31:                               ;   in Loop: Header=BB1_11 Depth=1
	v_mov_b32_e32 v3, v23
	v_mov_b32_e32 v5, v22
.LBB1_32:                               ;   Parent Loop BB1_11 Depth=1
                                        ; =>  This Inner Loop Header: Depth=2
	ds_read_b128 v[16:19], v3
	ds_read_b128 v[26:29], v3 offset:16
	ds_read_b128 v[30:33], v5
	ds_read_b128 v[34:37], v5 offset:16
	s_add_i32 s33, s33, 8
	v_add_u32_e32 v5, 32, v5
	v_add_u32_e32 v3, 32, v3
	s_waitcnt lgkmcnt(1)
	v_fma_f32 v0, v16, v30, v0
	v_fmac_f32_e32 v0, v17, v31
	v_fmac_f32_e32 v0, v18, v32
	;; [unrolled: 1-line block ×3, first 2 shown]
	s_waitcnt lgkmcnt(0)
	v_fmac_f32_e32 v0, v26, v34
	v_fmac_f32_e32 v0, v27, v35
	;; [unrolled: 1-line block ×3, first 2 shown]
	s_cmp_lg_u32 s27, s33
	v_fmac_f32_e32 v0, v29, v37
	s_cbranch_scc1 .LBB1_32
; %bb.33:                               ;   in Loop: Header=BB1_11 Depth=1
	s_mov_b32 s33, s27
.LBB1_34:                               ;   in Loop: Header=BB1_11 Depth=1
	s_andn2_b64 vcc, exec, s[48:49]
	s_cbranch_vccnz .LBB1_37
; %bb.35:                               ;   in Loop: Header=BB1_11 Depth=1
	s_lshl_b32 s33, s33, 2
	v_add_u32_e32 v3, s33, v22
	v_add_u32_e32 v5, s33, v23
	s_mov_b32 s33, s25
.LBB1_36:                               ;   Parent Loop BB1_11 Depth=1
                                        ; =>  This Inner Loop Header: Depth=2
	ds_read_b32 v16, v5
	ds_read_b32 v17, v3
	s_add_i32 s33, s33, -1
	v_add_u32_e32 v3, 4, v3
	v_add_u32_e32 v5, 4, v5
	s_cmp_lg_u32 s33, 0
	s_waitcnt lgkmcnt(0)
	v_fma_f32 v0, v16, v17, v0
	s_cbranch_scc1 .LBB1_36
.LBB1_37:                               ;   in Loop: Header=BB1_11 Depth=1
	s_or_b64 exec, exec, s[52:53]
	s_and_saveexec_b64 s[52:53], s[44:45]
	s_cbranch_execz .LBB1_9
; %bb.38:                               ;   in Loop: Header=BB1_11 Depth=1
	s_and_b64 vcc, exec, s[14:15]
	s_cbranch_vccnz .LBB1_42
; %bb.39:                               ;   in Loop: Header=BB1_11 Depth=1
	s_mov_b32 s14, 0
	v_mov_b32_e32 v3, v23
	v_mov_b32_e32 v5, v24
.LBB1_40:                               ;   Parent Loop BB1_11 Depth=1
                                        ; =>  This Inner Loop Header: Depth=2
	ds_read_b128 v[16:19], v3
	ds_read_b128 v[26:29], v3 offset:16
	ds_read_b128 v[30:33], v5
	ds_read_b128 v[34:37], v5 offset:16
	s_add_i32 s14, s14, 8
	v_add_u32_e32 v5, 32, v5
	v_add_u32_e32 v3, 32, v3
	s_waitcnt lgkmcnt(1)
	v_fma_f32 v1, v16, v30, v1
	v_fmac_f32_e32 v1, v17, v31
	v_fmac_f32_e32 v1, v18, v32
	;; [unrolled: 1-line block ×3, first 2 shown]
	s_waitcnt lgkmcnt(0)
	v_fmac_f32_e32 v1, v26, v34
	v_fmac_f32_e32 v1, v27, v35
	;; [unrolled: 1-line block ×3, first 2 shown]
	s_cmp_lg_u32 s27, s14
	v_fmac_f32_e32 v1, v29, v37
	s_cbranch_scc1 .LBB1_40
; %bb.41:                               ;   in Loop: Header=BB1_11 Depth=1
	s_mov_b32 s14, s27
	s_andn2_b64 vcc, exec, s[48:49]
	s_cbranch_vccz .LBB1_43
	s_branch .LBB1_9
.LBB1_42:                               ;   in Loop: Header=BB1_11 Depth=1
	s_mov_b32 s14, 0
	s_andn2_b64 vcc, exec, s[48:49]
	s_cbranch_vccnz .LBB1_9
.LBB1_43:                               ;   in Loop: Header=BB1_11 Depth=1
	s_lshl_b32 s14, s14, 2
	v_add_u32_e32 v3, s14, v24
	v_add_u32_e32 v5, s14, v23
	s_mov_b32 s14, s25
.LBB1_44:                               ;   Parent Loop BB1_11 Depth=1
                                        ; =>  This Inner Loop Header: Depth=2
	ds_read_b32 v16, v5
	ds_read_b32 v17, v3
	s_add_i32 s14, s14, -1
	v_add_u32_e32 v3, 4, v3
	v_add_u32_e32 v5, 4, v5
	s_cmp_lg_u32 s14, 0
	s_waitcnt lgkmcnt(0)
	v_fma_f32 v1, v16, v17, v1
	s_cbranch_scc1 .LBB1_44
	s_branch .LBB1_9
.LBB1_45:
	s_and_b64 s[8:9], s[28:29], s[8:9]
	s_and_saveexec_b64 s[10:11], s[8:9]
	s_cbranch_execz .LBB1_54
; %bb.46:
	s_mul_i32 s6, s6, s36
	v_add_u32_e32 v6, s6, v6
	s_load_dwordx2 s[4:5], s[4:5], 0x58
	v_ashrrev_i32_e32 v7, 31, v6
	v_lshlrev_b64 v[6:7], 2, v[6:7]
	v_mov_b32_e32 v5, s31
	v_add_co_u32_e32 v3, vcc, s30, v6
	v_cmp_neq_f32_e64 s[6:7], s18, 0
	v_addc_co_u32_e32 v5, vcc, v5, v7, vcc
	s_and_saveexec_b64 s[8:9], s[2:3]
	s_cbranch_execz .LBB1_50
; %bb.47:
	v_ashrrev_i32_e32 v7, 31, v4
	s_and_b64 vcc, exec, s[6:7]
	s_waitcnt lgkmcnt(0)
	v_mul_lo_u32 v6, v4, s5
	v_mul_lo_u32 v7, v7, s4
	v_mul_f32_e32 v0, s24, v0
	s_cbranch_vccz .LBB1_55
; %bb.48:
	v_mad_u64_u32 v[8:9], s[2:3], v4, s4, 0
	v_add3_u32 v9, v9, v6, v7
	v_lshlrev_b64 v[8:9], 2, v[8:9]
	v_add_co_u32_e32 v8, vcc, v3, v8
	v_addc_co_u32_e32 v9, vcc, v5, v9, vcc
	global_load_dword v10, v[8:9], off
	s_waitcnt vmcnt(0)
	v_fma_f32 v10, s18, v10, v0
	global_store_dword v[8:9], v10, off
	s_cbranch_execnz .LBB1_50
.LBB1_49:
	v_mad_u64_u32 v[8:9], s[2:3], v4, s4, 0
	v_add3_u32 v9, v9, v6, v7
	v_lshlrev_b64 v[6:7], 2, v[8:9]
	v_add_co_u32_e32 v6, vcc, v3, v6
	v_addc_co_u32_e32 v7, vcc, v5, v7, vcc
	global_store_dword v[6:7], v0, off
.LBB1_50:
	s_or_b64 exec, exec, s[8:9]
	s_and_b64 exec, exec, s[0:1]
	s_cbranch_execz .LBB1_54
; %bb.51:
	v_ashrrev_i32_e32 v0, 31, v2
	s_andn2_b64 vcc, exec, s[6:7]
	s_waitcnt lgkmcnt(0)
	v_mul_lo_u32 v4, v2, s5
	v_mul_lo_u32 v6, v0, s4
	v_mul_f32_e32 v0, s24, v1
	s_cbranch_vccnz .LBB1_56
; %bb.52:
	v_mad_u64_u32 v[8:9], s[0:1], v2, s4, 0
	v_add3_u32 v9, v9, v4, v6
	v_lshlrev_b64 v[8:9], 2, v[8:9]
	v_add_co_u32_e32 v8, vcc, v3, v8
	v_addc_co_u32_e32 v9, vcc, v5, v9, vcc
	global_load_dword v1, v[8:9], off
	s_waitcnt vmcnt(0)
	v_fma_f32 v1, s18, v1, v0
	global_store_dword v[8:9], v1, off
	s_cbranch_execnz .LBB1_54
.LBB1_53:
	v_mad_u64_u32 v[8:9], s[0:1], v2, s4, 0
	v_add3_u32 v9, v9, v4, v6
	v_lshlrev_b64 v[6:7], 2, v[8:9]
	v_add_co_u32_e32 v2, vcc, v3, v6
	v_addc_co_u32_e32 v3, vcc, v5, v7, vcc
	global_store_dword v[2:3], v0, off
.LBB1_54:
	s_endpgm
.LBB1_55:
	s_branch .LBB1_49
.LBB1_56:
	s_branch .LBB1_53
	.section	.rodata,"a",@progbits
	.p2align	6, 0x0
	.amdhsa_kernel _ZN9rocsparseL33gebsrmm_large_blockdim_kernel_extILi16ELi16ELi2EfEEv20rocsparse_direction_20rocsparse_operation_iiNS_24const_host_device_scalarIT2_EEPKiS7_PKS4_iiS9_lS5_PS4_l21rocsparse_index_base_b
		.amdhsa_group_segment_fixed_size 3072
		.amdhsa_private_segment_fixed_size 0
		.amdhsa_kernarg_size 104
		.amdhsa_user_sgpr_count 6
		.amdhsa_user_sgpr_private_segment_buffer 1
		.amdhsa_user_sgpr_dispatch_ptr 0
		.amdhsa_user_sgpr_queue_ptr 0
		.amdhsa_user_sgpr_kernarg_segment_ptr 1
		.amdhsa_user_sgpr_dispatch_id 0
		.amdhsa_user_sgpr_flat_scratch_init 0
		.amdhsa_user_sgpr_kernarg_preload_length 0
		.amdhsa_user_sgpr_kernarg_preload_offset 0
		.amdhsa_user_sgpr_private_segment_size 0
		.amdhsa_uses_dynamic_stack 0
		.amdhsa_system_sgpr_private_segment_wavefront_offset 0
		.amdhsa_system_sgpr_workgroup_id_x 1
		.amdhsa_system_sgpr_workgroup_id_y 1
		.amdhsa_system_sgpr_workgroup_id_z 0
		.amdhsa_system_sgpr_workgroup_info 0
		.amdhsa_system_vgpr_workitem_id 1
		.amdhsa_next_free_vgpr 38
		.amdhsa_next_free_sgpr 56
		.amdhsa_accum_offset 40
		.amdhsa_reserve_vcc 1
		.amdhsa_reserve_flat_scratch 0
		.amdhsa_float_round_mode_32 0
		.amdhsa_float_round_mode_16_64 0
		.amdhsa_float_denorm_mode_32 3
		.amdhsa_float_denorm_mode_16_64 3
		.amdhsa_dx10_clamp 1
		.amdhsa_ieee_mode 1
		.amdhsa_fp16_overflow 0
		.amdhsa_tg_split 0
		.amdhsa_exception_fp_ieee_invalid_op 0
		.amdhsa_exception_fp_denorm_src 0
		.amdhsa_exception_fp_ieee_div_zero 0
		.amdhsa_exception_fp_ieee_overflow 0
		.amdhsa_exception_fp_ieee_underflow 0
		.amdhsa_exception_fp_ieee_inexact 0
		.amdhsa_exception_int_div_zero 0
	.end_amdhsa_kernel
	.section	.text._ZN9rocsparseL33gebsrmm_large_blockdim_kernel_extILi16ELi16ELi2EfEEv20rocsparse_direction_20rocsparse_operation_iiNS_24const_host_device_scalarIT2_EEPKiS7_PKS4_iiS9_lS5_PS4_l21rocsparse_index_base_b,"axG",@progbits,_ZN9rocsparseL33gebsrmm_large_blockdim_kernel_extILi16ELi16ELi2EfEEv20rocsparse_direction_20rocsparse_operation_iiNS_24const_host_device_scalarIT2_EEPKiS7_PKS4_iiS9_lS5_PS4_l21rocsparse_index_base_b,comdat
.Lfunc_end1:
	.size	_ZN9rocsparseL33gebsrmm_large_blockdim_kernel_extILi16ELi16ELi2EfEEv20rocsparse_direction_20rocsparse_operation_iiNS_24const_host_device_scalarIT2_EEPKiS7_PKS4_iiS9_lS5_PS4_l21rocsparse_index_base_b, .Lfunc_end1-_ZN9rocsparseL33gebsrmm_large_blockdim_kernel_extILi16ELi16ELi2EfEEv20rocsparse_direction_20rocsparse_operation_iiNS_24const_host_device_scalarIT2_EEPKiS7_PKS4_iiS9_lS5_PS4_l21rocsparse_index_base_b
                                        ; -- End function
	.section	.AMDGPU.csdata,"",@progbits
; Kernel info:
; codeLenInByte = 1836
; NumSgprs: 60
; NumVgprs: 38
; NumAgprs: 0
; TotalNumVgprs: 38
; ScratchSize: 0
; MemoryBound: 0
; FloatMode: 240
; IeeeMode: 1
; LDSByteSize: 3072 bytes/workgroup (compile time only)
; SGPRBlocks: 7
; VGPRBlocks: 4
; NumSGPRsForWavesPerEU: 60
; NumVGPRsForWavesPerEU: 38
; AccumOffset: 40
; Occupancy: 8
; WaveLimiterHint : 1
; COMPUTE_PGM_RSRC2:SCRATCH_EN: 0
; COMPUTE_PGM_RSRC2:USER_SGPR: 6
; COMPUTE_PGM_RSRC2:TRAP_HANDLER: 0
; COMPUTE_PGM_RSRC2:TGID_X_EN: 1
; COMPUTE_PGM_RSRC2:TGID_Y_EN: 1
; COMPUTE_PGM_RSRC2:TGID_Z_EN: 0
; COMPUTE_PGM_RSRC2:TIDIG_COMP_CNT: 1
; COMPUTE_PGM_RSRC3_GFX90A:ACCUM_OFFSET: 9
; COMPUTE_PGM_RSRC3_GFX90A:TG_SPLIT: 0
	.section	.text._ZN9rocsparseL33gebsrmm_large_blockdim_kernel_extILi32ELi32ELi2EfEEv20rocsparse_direction_20rocsparse_operation_iiNS_24const_host_device_scalarIT2_EEPKiS7_PKS4_iiS9_lS5_PS4_l21rocsparse_index_base_b,"axG",@progbits,_ZN9rocsparseL33gebsrmm_large_blockdim_kernel_extILi32ELi32ELi2EfEEv20rocsparse_direction_20rocsparse_operation_iiNS_24const_host_device_scalarIT2_EEPKiS7_PKS4_iiS9_lS5_PS4_l21rocsparse_index_base_b,comdat
	.globl	_ZN9rocsparseL33gebsrmm_large_blockdim_kernel_extILi32ELi32ELi2EfEEv20rocsparse_direction_20rocsparse_operation_iiNS_24const_host_device_scalarIT2_EEPKiS7_PKS4_iiS9_lS5_PS4_l21rocsparse_index_base_b ; -- Begin function _ZN9rocsparseL33gebsrmm_large_blockdim_kernel_extILi32ELi32ELi2EfEEv20rocsparse_direction_20rocsparse_operation_iiNS_24const_host_device_scalarIT2_EEPKiS7_PKS4_iiS9_lS5_PS4_l21rocsparse_index_base_b
	.p2align	8
	.type	_ZN9rocsparseL33gebsrmm_large_blockdim_kernel_extILi32ELi32ELi2EfEEv20rocsparse_direction_20rocsparse_operation_iiNS_24const_host_device_scalarIT2_EEPKiS7_PKS4_iiS9_lS5_PS4_l21rocsparse_index_base_b,@function
_ZN9rocsparseL33gebsrmm_large_blockdim_kernel_extILi32ELi32ELi2EfEEv20rocsparse_direction_20rocsparse_operation_iiNS_24const_host_device_scalarIT2_EEPKiS7_PKS4_iiS9_lS5_PS4_l21rocsparse_index_base_b: ; @_ZN9rocsparseL33gebsrmm_large_blockdim_kernel_extILi32ELi32ELi2EfEEv20rocsparse_direction_20rocsparse_operation_iiNS_24const_host_device_scalarIT2_EEPKiS7_PKS4_iiS9_lS5_PS4_l21rocsparse_index_base_b
; %bb.0:
	s_load_dwordx2 s[26:27], s[4:5], 0x60
	s_load_dwordx2 s[24:25], s[4:5], 0x10
	s_load_dwordx4 s[16:19], s[4:5], 0x40
	s_waitcnt lgkmcnt(0)
	s_bitcmp1_b32 s27, 0
	s_cselect_b64 s[2:3], -1, 0
	s_xor_b64 s[0:1], s[2:3], -1
	s_and_b64 vcc, exec, s[2:3]
	s_cbranch_vccnz .LBB2_2
; %bb.1:
	s_load_dword s24, s[24:25], 0x0
.LBB2_2:
	s_andn2_b64 vcc, exec, s[0:1]
	s_cbranch_vccnz .LBB2_4
; %bb.3:
	s_load_dword s18, s[18:19], 0x0
.LBB2_4:
	s_waitcnt lgkmcnt(0)
	v_cmp_eq_f32_e64 s[0:1], s24, 0
	v_cmp_eq_f32_e64 s[2:3], s18, 1.0
	s_and_b64 s[0:1], s[0:1], s[2:3]
	s_mov_b32 s34, 0
	s_and_b64 vcc, exec, s[0:1]
	s_cbranch_vccnz .LBB2_54
; %bb.5:
	s_load_dwordx4 s[12:15], s[4:5], 0x0
	s_mov_b32 s19, 0
	s_waitcnt lgkmcnt(0)
	s_cmp_lt_i32 s6, s14
	s_cselect_b64 s[28:29], -1, 0
	s_cmp_ge_i32 s6, s14
	s_cbranch_scc1 .LBB2_7
; %bb.6:
	s_load_dwordx2 s[2:3], s[4:5], 0x18
	s_mov_b32 s0, s7
	s_ashr_i32 s7, s6, 31
	s_lshl_b64 s[8:9], s[6:7], 2
	s_mov_b32 s7, s0
	s_waitcnt lgkmcnt(0)
	s_add_u32 s0, s2, s8
	s_addc_u32 s1, s3, s9
	s_load_dwordx2 s[0:1], s[0:1], 0x0
	s_waitcnt lgkmcnt(0)
	s_sub_i32 s34, s0, s26
	s_sub_i32 s19, s1, s26
.LBB2_7:
	s_load_dwordx2 s[30:31], s[4:5], 0x50
	s_load_dwordx2 s[36:37], s[4:5], 0x30
	v_bfe_u32 v8, v0, 10, 10
	v_lshl_add_u32 v4, s7, 6, v8
	v_add_u32_e32 v2, 32, v4
	s_mov_b32 s14, 0
	v_cmp_gt_i32_e64 s[2:3], s15, v4
	v_cmp_gt_i32_e64 s[0:1], s15, v2
	v_and_b32_e32 v6, 0x3ff, v0
	s_mov_b32 s15, s14
	s_waitcnt lgkmcnt(0)
	v_cmp_gt_i32_e64 s[8:9], s36, v6
	s_cmp_ge_i32 s34, s19
	v_pk_mov_b32 v[0:1], s[14:15], s[14:15] op_sel:[0,1]
	s_cbranch_scc1 .LBB2_45
; %bb.8:
	v_cmp_gt_i32_e32 vcc, s37, v8
	s_and_b64 s[40:41], s[8:9], vcc
	s_cmpk_lg_i32 s13, 0x6f
	s_cselect_b64 s[50:51], -1, 0
	s_cmp_eq_u32 s12, 0
	v_mov_b32_e32 v9, 0x2000
	v_mad_u64_u32 v[0:1], s[12:13], v8, s36, v[6:7]
	v_mad_u64_u32 v[10:11], s[12:13], v6, s37, v[8:9]
	s_cselect_b64 vcc, -1, 0
	s_cmp_gt_i32 s37, 0
	s_cselect_b64 s[12:13], -1, 0
	v_mad_u64_u32 v[12:13], s[42:43], v4, s16, 0
	v_mad_u64_u32 v[14:15], s[42:43], v2, s16, 0
	s_load_dwordx4 s[20:23], s[4:5], 0x20
	s_load_dwordx2 s[38:39], s[4:5], 0x38
	v_lshlrev_b32_e32 v3, 5, v8
	v_lshl_add_u32 v1, v6, 5, v8
	v_ashrrev_i32_e32 v5, 31, v4
	s_and_b64 s[42:43], s[2:3], s[12:13]
	s_and_b64 s[44:45], s[0:1], s[12:13]
	s_and_b32 s25, s37, 7
	v_lshl_add_u32 v7, v1, 2, v9
	v_add_lshl_u32 v20, v3, v6, 2
	v_ashrrev_i32_e32 v3, 31, v2
	v_mul_lo_u32 v1, v4, s17
	v_mul_lo_u32 v11, v5, s16
	s_cmp_gt_u32 s37, 7
	v_add3_u32 v13, v13, v1, v11
	v_mul_lo_u32 v1, v2, s17
	v_mul_lo_u32 v11, v3, s16
	s_cselect_b64 s[46:47], -1, 0
	s_and_b32 s27, s37, 0x7ffffff8
	v_add3_u32 v15, v15, v1, v11
	s_cmp_lg_u32 s25, 0
	v_lshlrev_b32_e32 v22, 7, v8
	v_cndmask_b32_e64 v8, 0, 1, s[50:51]
	s_mul_i32 s7, s37, s36
	v_cmp_gt_i32_e64 s[10:11], s37, v6
	v_cndmask_b32_e32 v21, v0, v10, vcc
	s_cselect_b64 s[48:49], -1, 0
	v_lshl_add_u32 v23, v6, 7, v9
	v_add_u32_e32 v24, 0x1000, v22
	v_pk_mov_b32 v[0:1], s[14:15], s[14:15] op_sel:[0,1]
	v_cmp_ne_u32_e64 s[12:13], 1, v8
	v_lshlrev_b64 v[8:9], 2, v[4:5]
	v_lshlrev_b64 v[10:11], 2, v[2:3]
	;; [unrolled: 1-line block ×4, first 2 shown]
	s_branch .LBB2_11
.LBB2_9:                                ;   in Loop: Header=BB2_11 Depth=1
	s_or_b64 exec, exec, s[52:53]
.LBB2_10:                               ;   in Loop: Header=BB2_11 Depth=1
	s_or_b64 exec, exec, s[50:51]
	s_add_i32 s34, s34, 1
	s_cmp_ge_i32 s34, s19
	s_barrier
	s_cbranch_scc1 .LBB2_45
.LBB2_11:                               ; =>This Loop Header: Depth=1
                                        ;     Child Loop BB2_32 Depth 2
                                        ;     Child Loop BB2_36 Depth 2
	;; [unrolled: 1-line block ×4, first 2 shown]
	s_and_saveexec_b64 s[14:15], s[10:11]
	s_cbranch_execz .LBB2_26
; %bb.12:                               ;   in Loop: Header=BB2_11 Depth=1
	s_ashr_i32 s35, s34, 31
	s_lshl_b64 s[50:51], s[34:35], 2
	s_waitcnt lgkmcnt(0)
	s_add_u32 s50, s20, s50
	s_addc_u32 s51, s21, s51
	s_load_dword s33, s[50:51], 0x0
	s_and_b64 vcc, exec, s[12:13]
	s_waitcnt lgkmcnt(0)
	s_sub_i32 s33, s33, s26
	s_mul_i32 s33, s33, s37
	v_add_u32_e32 v16, s33, v6
	v_ashrrev_i32_e32 v17, 31, v16
	s_cbranch_vccnz .LBB2_18
; %bb.13:                               ;   in Loop: Header=BB2_11 Depth=1
	v_mul_lo_u32 v3, v17, s16
	v_mul_lo_u32 v5, v16, s17
	v_mad_u64_u32 v[18:19], s[50:51], v16, s16, 0
	v_add3_u32 v19, v19, v5, v3
	v_lshlrev_b64 v[18:19], 2, v[18:19]
	v_mov_b32_e32 v5, s39
	v_add_co_u32_e32 v3, vcc, s38, v18
	v_addc_co_u32_e32 v5, vcc, v5, v19, vcc
	s_and_saveexec_b64 s[50:51], s[2:3]
	s_cbranch_execz .LBB2_15
; %bb.14:                               ;   in Loop: Header=BB2_11 Depth=1
	v_add_co_u32_e32 v18, vcc, v3, v8
	v_addc_co_u32_e32 v19, vcc, v5, v9, vcc
	global_load_dword v18, v[18:19], off
	s_waitcnt vmcnt(0)
	ds_write_b32 v20, v18
.LBB2_15:                               ;   in Loop: Header=BB2_11 Depth=1
	s_or_b64 exec, exec, s[50:51]
	s_mov_b64 s[52:53], 0
	s_mov_b64 s[50:51], 0
                                        ; implicit-def: $vgpr18_vgpr19
	s_and_saveexec_b64 s[54:55], s[0:1]
	s_xor_b64 s[54:55], exec, s[54:55]
; %bb.16:                               ;   in Loop: Header=BB2_11 Depth=1
	v_add_co_u32_e32 v18, vcc, v3, v10
	s_mov_b64 s[50:51], exec
	v_addc_co_u32_e32 v19, vcc, v5, v11, vcc
; %bb.17:                               ;   in Loop: Header=BB2_11 Depth=1
	s_or_b64 exec, exec, s[54:55]
	s_and_b64 vcc, exec, s[52:53]
	s_cbranch_vccnz .LBB2_19
	s_branch .LBB2_24
.LBB2_18:                               ;   in Loop: Header=BB2_11 Depth=1
	s_mov_b64 s[50:51], 0
                                        ; implicit-def: $vgpr18_vgpr19
	s_cbranch_execz .LBB2_24
.LBB2_19:                               ;   in Loop: Header=BB2_11 Depth=1
	v_lshlrev_b64 v[16:17], 2, v[16:17]
	v_mov_b32_e32 v5, s39
	v_add_co_u32_e32 v3, vcc, s38, v16
	v_addc_co_u32_e32 v5, vcc, v5, v17, vcc
	s_and_saveexec_b64 s[52:53], s[2:3]
	s_cbranch_execz .LBB2_21
; %bb.20:                               ;   in Loop: Header=BB2_11 Depth=1
	v_add_co_u32_e32 v16, vcc, v3, v12
	v_addc_co_u32_e32 v17, vcc, v5, v13, vcc
	global_load_dword v16, v[16:17], off
	s_waitcnt vmcnt(0)
	ds_write_b32 v20, v16
.LBB2_21:                               ;   in Loop: Header=BB2_11 Depth=1
	s_or_b64 exec, exec, s[52:53]
                                        ; implicit-def: $vgpr18_vgpr19
	s_and_saveexec_b64 s[52:53], s[0:1]
; %bb.22:                               ;   in Loop: Header=BB2_11 Depth=1
	v_add_co_u32_e32 v18, vcc, v3, v14
	v_addc_co_u32_e32 v19, vcc, v5, v15, vcc
	s_or_b64 s[50:51], s[50:51], exec
; %bb.23:                               ;   in Loop: Header=BB2_11 Depth=1
	s_or_b64 exec, exec, s[52:53]
.LBB2_24:                               ;   in Loop: Header=BB2_11 Depth=1
	s_and_b64 exec, exec, s[50:51]
	s_cbranch_execz .LBB2_26
; %bb.25:                               ;   in Loop: Header=BB2_11 Depth=1
	global_load_dword v3, v[18:19], off
	s_waitcnt vmcnt(0)
	ds_write_b32 v20, v3 offset:4096
.LBB2_26:                               ;   in Loop: Header=BB2_11 Depth=1
	s_or_b64 exec, exec, s[14:15]
	s_and_saveexec_b64 s[14:15], s[40:41]
	s_cbranch_execz .LBB2_28
; %bb.27:                               ;   in Loop: Header=BB2_11 Depth=1
	s_mul_i32 s33, s7, s34
	v_add_u32_e32 v16, s33, v21
	v_ashrrev_i32_e32 v17, 31, v16
	v_lshlrev_b64 v[16:17], 2, v[16:17]
	s_waitcnt lgkmcnt(0)
	v_mov_b32_e32 v3, s23
	v_add_co_u32_e32 v16, vcc, s22, v16
	v_addc_co_u32_e32 v17, vcc, v3, v17, vcc
	global_load_dword v3, v[16:17], off
	s_waitcnt vmcnt(0)
	ds_write_b32 v7, v3
.LBB2_28:                               ;   in Loop: Header=BB2_11 Depth=1
	s_or_b64 exec, exec, s[14:15]
	s_waitcnt lgkmcnt(0)
	s_barrier
	s_and_saveexec_b64 s[50:51], s[8:9]
	s_cbranch_execz .LBB2_10
; %bb.29:                               ;   in Loop: Header=BB2_11 Depth=1
	v_cndmask_b32_e64 v3, 0, 1, s[46:47]
	v_cmp_ne_u32_e64 s[14:15], 1, v3
	s_and_saveexec_b64 s[52:53], s[42:43]
	s_cbranch_execz .LBB2_37
; %bb.30:                               ;   in Loop: Header=BB2_11 Depth=1
	s_mov_b32 s33, 0
	s_and_b64 vcc, exec, s[14:15]
	s_cbranch_vccnz .LBB2_34
; %bb.31:                               ;   in Loop: Header=BB2_11 Depth=1
	v_mov_b32_e32 v3, v23
	v_mov_b32_e32 v5, v22
.LBB2_32:                               ;   Parent Loop BB2_11 Depth=1
                                        ; =>  This Inner Loop Header: Depth=2
	ds_read_b128 v[16:19], v3
	ds_read_b128 v[26:29], v3 offset:16
	ds_read_b128 v[30:33], v5
	ds_read_b128 v[34:37], v5 offset:16
	s_add_i32 s33, s33, 8
	v_add_u32_e32 v5, 32, v5
	v_add_u32_e32 v3, 32, v3
	s_waitcnt lgkmcnt(1)
	v_fma_f32 v0, v16, v30, v0
	v_fmac_f32_e32 v0, v17, v31
	v_fmac_f32_e32 v0, v18, v32
	;; [unrolled: 1-line block ×3, first 2 shown]
	s_waitcnt lgkmcnt(0)
	v_fmac_f32_e32 v0, v26, v34
	v_fmac_f32_e32 v0, v27, v35
	;; [unrolled: 1-line block ×3, first 2 shown]
	s_cmp_lg_u32 s27, s33
	v_fmac_f32_e32 v0, v29, v37
	s_cbranch_scc1 .LBB2_32
; %bb.33:                               ;   in Loop: Header=BB2_11 Depth=1
	s_mov_b32 s33, s27
.LBB2_34:                               ;   in Loop: Header=BB2_11 Depth=1
	s_andn2_b64 vcc, exec, s[48:49]
	s_cbranch_vccnz .LBB2_37
; %bb.35:                               ;   in Loop: Header=BB2_11 Depth=1
	s_lshl_b32 s33, s33, 2
	v_add_u32_e32 v3, s33, v22
	v_add_u32_e32 v5, s33, v23
	s_mov_b32 s33, s25
.LBB2_36:                               ;   Parent Loop BB2_11 Depth=1
                                        ; =>  This Inner Loop Header: Depth=2
	ds_read_b32 v16, v5
	ds_read_b32 v17, v3
	s_add_i32 s33, s33, -1
	v_add_u32_e32 v3, 4, v3
	v_add_u32_e32 v5, 4, v5
	s_cmp_lg_u32 s33, 0
	s_waitcnt lgkmcnt(0)
	v_fma_f32 v0, v16, v17, v0
	s_cbranch_scc1 .LBB2_36
.LBB2_37:                               ;   in Loop: Header=BB2_11 Depth=1
	s_or_b64 exec, exec, s[52:53]
	s_and_saveexec_b64 s[52:53], s[44:45]
	s_cbranch_execz .LBB2_9
; %bb.38:                               ;   in Loop: Header=BB2_11 Depth=1
	s_and_b64 vcc, exec, s[14:15]
	s_cbranch_vccnz .LBB2_42
; %bb.39:                               ;   in Loop: Header=BB2_11 Depth=1
	s_mov_b32 s14, 0
	v_mov_b32_e32 v3, v23
	v_mov_b32_e32 v5, v24
.LBB2_40:                               ;   Parent Loop BB2_11 Depth=1
                                        ; =>  This Inner Loop Header: Depth=2
	ds_read_b128 v[16:19], v3
	ds_read_b128 v[26:29], v3 offset:16
	ds_read_b128 v[30:33], v5
	ds_read_b128 v[34:37], v5 offset:16
	s_add_i32 s14, s14, 8
	v_add_u32_e32 v5, 32, v5
	v_add_u32_e32 v3, 32, v3
	s_waitcnt lgkmcnt(1)
	v_fma_f32 v1, v16, v30, v1
	v_fmac_f32_e32 v1, v17, v31
	v_fmac_f32_e32 v1, v18, v32
	;; [unrolled: 1-line block ×3, first 2 shown]
	s_waitcnt lgkmcnt(0)
	v_fmac_f32_e32 v1, v26, v34
	v_fmac_f32_e32 v1, v27, v35
	v_fmac_f32_e32 v1, v28, v36
	s_cmp_lg_u32 s27, s14
	v_fmac_f32_e32 v1, v29, v37
	s_cbranch_scc1 .LBB2_40
; %bb.41:                               ;   in Loop: Header=BB2_11 Depth=1
	s_mov_b32 s14, s27
	s_andn2_b64 vcc, exec, s[48:49]
	s_cbranch_vccz .LBB2_43
	s_branch .LBB2_9
.LBB2_42:                               ;   in Loop: Header=BB2_11 Depth=1
	s_mov_b32 s14, 0
	s_andn2_b64 vcc, exec, s[48:49]
	s_cbranch_vccnz .LBB2_9
.LBB2_43:                               ;   in Loop: Header=BB2_11 Depth=1
	s_lshl_b32 s14, s14, 2
	v_add_u32_e32 v3, s14, v24
	v_add_u32_e32 v5, s14, v23
	s_mov_b32 s14, s25
.LBB2_44:                               ;   Parent Loop BB2_11 Depth=1
                                        ; =>  This Inner Loop Header: Depth=2
	ds_read_b32 v16, v5
	ds_read_b32 v17, v3
	s_add_i32 s14, s14, -1
	v_add_u32_e32 v3, 4, v3
	v_add_u32_e32 v5, 4, v5
	s_cmp_lg_u32 s14, 0
	s_waitcnt lgkmcnt(0)
	v_fma_f32 v1, v16, v17, v1
	s_cbranch_scc1 .LBB2_44
	s_branch .LBB2_9
.LBB2_45:
	s_and_b64 s[8:9], s[28:29], s[8:9]
	s_and_saveexec_b64 s[10:11], s[8:9]
	s_cbranch_execz .LBB2_54
; %bb.46:
	s_mul_i32 s6, s6, s36
	v_add_u32_e32 v6, s6, v6
	s_load_dwordx2 s[4:5], s[4:5], 0x58
	v_ashrrev_i32_e32 v7, 31, v6
	v_lshlrev_b64 v[6:7], 2, v[6:7]
	v_mov_b32_e32 v5, s31
	v_add_co_u32_e32 v3, vcc, s30, v6
	v_cmp_neq_f32_e64 s[6:7], s18, 0
	v_addc_co_u32_e32 v5, vcc, v5, v7, vcc
	s_and_saveexec_b64 s[8:9], s[2:3]
	s_cbranch_execz .LBB2_50
; %bb.47:
	v_ashrrev_i32_e32 v7, 31, v4
	s_and_b64 vcc, exec, s[6:7]
	s_waitcnt lgkmcnt(0)
	v_mul_lo_u32 v6, v4, s5
	v_mul_lo_u32 v7, v7, s4
	v_mul_f32_e32 v0, s24, v0
	s_cbranch_vccz .LBB2_55
; %bb.48:
	v_mad_u64_u32 v[8:9], s[2:3], v4, s4, 0
	v_add3_u32 v9, v9, v6, v7
	v_lshlrev_b64 v[8:9], 2, v[8:9]
	v_add_co_u32_e32 v8, vcc, v3, v8
	v_addc_co_u32_e32 v9, vcc, v5, v9, vcc
	global_load_dword v10, v[8:9], off
	s_waitcnt vmcnt(0)
	v_fma_f32 v10, s18, v10, v0
	global_store_dword v[8:9], v10, off
	s_cbranch_execnz .LBB2_50
.LBB2_49:
	v_mad_u64_u32 v[8:9], s[2:3], v4, s4, 0
	v_add3_u32 v9, v9, v6, v7
	v_lshlrev_b64 v[6:7], 2, v[8:9]
	v_add_co_u32_e32 v6, vcc, v3, v6
	v_addc_co_u32_e32 v7, vcc, v5, v7, vcc
	global_store_dword v[6:7], v0, off
.LBB2_50:
	s_or_b64 exec, exec, s[8:9]
	s_and_b64 exec, exec, s[0:1]
	s_cbranch_execz .LBB2_54
; %bb.51:
	v_ashrrev_i32_e32 v0, 31, v2
	s_andn2_b64 vcc, exec, s[6:7]
	s_waitcnt lgkmcnt(0)
	v_mul_lo_u32 v4, v2, s5
	v_mul_lo_u32 v6, v0, s4
	v_mul_f32_e32 v0, s24, v1
	s_cbranch_vccnz .LBB2_56
; %bb.52:
	v_mad_u64_u32 v[8:9], s[0:1], v2, s4, 0
	v_add3_u32 v9, v9, v4, v6
	v_lshlrev_b64 v[8:9], 2, v[8:9]
	v_add_co_u32_e32 v8, vcc, v3, v8
	v_addc_co_u32_e32 v9, vcc, v5, v9, vcc
	global_load_dword v1, v[8:9], off
	s_waitcnt vmcnt(0)
	v_fma_f32 v1, s18, v1, v0
	global_store_dword v[8:9], v1, off
	s_cbranch_execnz .LBB2_54
.LBB2_53:
	v_mad_u64_u32 v[8:9], s[0:1], v2, s4, 0
	v_add3_u32 v9, v9, v4, v6
	v_lshlrev_b64 v[6:7], 2, v[8:9]
	v_add_co_u32_e32 v2, vcc, v3, v6
	v_addc_co_u32_e32 v3, vcc, v5, v7, vcc
	global_store_dword v[2:3], v0, off
.LBB2_54:
	s_endpgm
.LBB2_55:
	s_branch .LBB2_49
.LBB2_56:
	s_branch .LBB2_53
	.section	.rodata,"a",@progbits
	.p2align	6, 0x0
	.amdhsa_kernel _ZN9rocsparseL33gebsrmm_large_blockdim_kernel_extILi32ELi32ELi2EfEEv20rocsparse_direction_20rocsparse_operation_iiNS_24const_host_device_scalarIT2_EEPKiS7_PKS4_iiS9_lS5_PS4_l21rocsparse_index_base_b
		.amdhsa_group_segment_fixed_size 12288
		.amdhsa_private_segment_fixed_size 0
		.amdhsa_kernarg_size 104
		.amdhsa_user_sgpr_count 6
		.amdhsa_user_sgpr_private_segment_buffer 1
		.amdhsa_user_sgpr_dispatch_ptr 0
		.amdhsa_user_sgpr_queue_ptr 0
		.amdhsa_user_sgpr_kernarg_segment_ptr 1
		.amdhsa_user_sgpr_dispatch_id 0
		.amdhsa_user_sgpr_flat_scratch_init 0
		.amdhsa_user_sgpr_kernarg_preload_length 0
		.amdhsa_user_sgpr_kernarg_preload_offset 0
		.amdhsa_user_sgpr_private_segment_size 0
		.amdhsa_uses_dynamic_stack 0
		.amdhsa_system_sgpr_private_segment_wavefront_offset 0
		.amdhsa_system_sgpr_workgroup_id_x 1
		.amdhsa_system_sgpr_workgroup_id_y 1
		.amdhsa_system_sgpr_workgroup_id_z 0
		.amdhsa_system_sgpr_workgroup_info 0
		.amdhsa_system_vgpr_workitem_id 1
		.amdhsa_next_free_vgpr 38
		.amdhsa_next_free_sgpr 56
		.amdhsa_accum_offset 40
		.amdhsa_reserve_vcc 1
		.amdhsa_reserve_flat_scratch 0
		.amdhsa_float_round_mode_32 0
		.amdhsa_float_round_mode_16_64 0
		.amdhsa_float_denorm_mode_32 3
		.amdhsa_float_denorm_mode_16_64 3
		.amdhsa_dx10_clamp 1
		.amdhsa_ieee_mode 1
		.amdhsa_fp16_overflow 0
		.amdhsa_tg_split 0
		.amdhsa_exception_fp_ieee_invalid_op 0
		.amdhsa_exception_fp_denorm_src 0
		.amdhsa_exception_fp_ieee_div_zero 0
		.amdhsa_exception_fp_ieee_overflow 0
		.amdhsa_exception_fp_ieee_underflow 0
		.amdhsa_exception_fp_ieee_inexact 0
		.amdhsa_exception_int_div_zero 0
	.end_amdhsa_kernel
	.section	.text._ZN9rocsparseL33gebsrmm_large_blockdim_kernel_extILi32ELi32ELi2EfEEv20rocsparse_direction_20rocsparse_operation_iiNS_24const_host_device_scalarIT2_EEPKiS7_PKS4_iiS9_lS5_PS4_l21rocsparse_index_base_b,"axG",@progbits,_ZN9rocsparseL33gebsrmm_large_blockdim_kernel_extILi32ELi32ELi2EfEEv20rocsparse_direction_20rocsparse_operation_iiNS_24const_host_device_scalarIT2_EEPKiS7_PKS4_iiS9_lS5_PS4_l21rocsparse_index_base_b,comdat
.Lfunc_end2:
	.size	_ZN9rocsparseL33gebsrmm_large_blockdim_kernel_extILi32ELi32ELi2EfEEv20rocsparse_direction_20rocsparse_operation_iiNS_24const_host_device_scalarIT2_EEPKiS7_PKS4_iiS9_lS5_PS4_l21rocsparse_index_base_b, .Lfunc_end2-_ZN9rocsparseL33gebsrmm_large_blockdim_kernel_extILi32ELi32ELi2EfEEv20rocsparse_direction_20rocsparse_operation_iiNS_24const_host_device_scalarIT2_EEPKiS7_PKS4_iiS9_lS5_PS4_l21rocsparse_index_base_b
                                        ; -- End function
	.section	.AMDGPU.csdata,"",@progbits
; Kernel info:
; codeLenInByte = 1836
; NumSgprs: 60
; NumVgprs: 38
; NumAgprs: 0
; TotalNumVgprs: 38
; ScratchSize: 0
; MemoryBound: 0
; FloatMode: 240
; IeeeMode: 1
; LDSByteSize: 12288 bytes/workgroup (compile time only)
; SGPRBlocks: 7
; VGPRBlocks: 4
; NumSGPRsForWavesPerEU: 60
; NumVGPRsForWavesPerEU: 38
; AccumOffset: 40
; Occupancy: 8
; WaveLimiterHint : 1
; COMPUTE_PGM_RSRC2:SCRATCH_EN: 0
; COMPUTE_PGM_RSRC2:USER_SGPR: 6
; COMPUTE_PGM_RSRC2:TRAP_HANDLER: 0
; COMPUTE_PGM_RSRC2:TGID_X_EN: 1
; COMPUTE_PGM_RSRC2:TGID_Y_EN: 1
; COMPUTE_PGM_RSRC2:TGID_Z_EN: 0
; COMPUTE_PGM_RSRC2:TIDIG_COMP_CNT: 1
; COMPUTE_PGM_RSRC3_GFX90A:ACCUM_OFFSET: 9
; COMPUTE_PGM_RSRC3_GFX90A:TG_SPLIT: 0
	.section	.text._ZN9rocsparseL33gebsrmm_large_blockdim_kernel_extILi8ELi8ELi2EdEEv20rocsparse_direction_20rocsparse_operation_iiNS_24const_host_device_scalarIT2_EEPKiS7_PKS4_iiS9_lS5_PS4_l21rocsparse_index_base_b,"axG",@progbits,_ZN9rocsparseL33gebsrmm_large_blockdim_kernel_extILi8ELi8ELi2EdEEv20rocsparse_direction_20rocsparse_operation_iiNS_24const_host_device_scalarIT2_EEPKiS7_PKS4_iiS9_lS5_PS4_l21rocsparse_index_base_b,comdat
	.globl	_ZN9rocsparseL33gebsrmm_large_blockdim_kernel_extILi8ELi8ELi2EdEEv20rocsparse_direction_20rocsparse_operation_iiNS_24const_host_device_scalarIT2_EEPKiS7_PKS4_iiS9_lS5_PS4_l21rocsparse_index_base_b ; -- Begin function _ZN9rocsparseL33gebsrmm_large_blockdim_kernel_extILi8ELi8ELi2EdEEv20rocsparse_direction_20rocsparse_operation_iiNS_24const_host_device_scalarIT2_EEPKiS7_PKS4_iiS9_lS5_PS4_l21rocsparse_index_base_b
	.p2align	8
	.type	_ZN9rocsparseL33gebsrmm_large_blockdim_kernel_extILi8ELi8ELi2EdEEv20rocsparse_direction_20rocsparse_operation_iiNS_24const_host_device_scalarIT2_EEPKiS7_PKS4_iiS9_lS5_PS4_l21rocsparse_index_base_b,@function
_ZN9rocsparseL33gebsrmm_large_blockdim_kernel_extILi8ELi8ELi2EdEEv20rocsparse_direction_20rocsparse_operation_iiNS_24const_host_device_scalarIT2_EEPKiS7_PKS4_iiS9_lS5_PS4_l21rocsparse_index_base_b: ; @_ZN9rocsparseL33gebsrmm_large_blockdim_kernel_extILi8ELi8ELi2EdEEv20rocsparse_direction_20rocsparse_operation_iiNS_24const_host_device_scalarIT2_EEPKiS7_PKS4_iiS9_lS5_PS4_l21rocsparse_index_base_b
; %bb.0:
	s_load_dwordx2 s[28:29], s[4:5], 0x60
	s_load_dwordx2 s[2:3], s[4:5], 0x10
	s_load_dwordx4 s[16:19], s[4:5], 0x40
	s_waitcnt lgkmcnt(0)
	s_bitcmp1_b32 s29, 0
	s_cselect_b64 s[8:9], -1, 0
	s_xor_b64 s[0:1], s[8:9], -1
	s_and_b64 vcc, exec, s[8:9]
	v_pk_mov_b32 v[4:5], s[2:3], s[2:3] op_sel:[0,1]
	s_cbranch_vccnz .LBB3_2
; %bb.1:
	v_pk_mov_b32 v[2:3], s[2:3], s[2:3] op_sel:[0,1]
	flat_load_dwordx2 v[4:5], v[2:3]
.LBB3_2:
	s_andn2_b64 vcc, exec, s[0:1]
	v_pk_mov_b32 v[6:7], s[18:19], s[18:19] op_sel:[0,1]
	s_cbranch_vccnz .LBB3_4
; %bb.3:
	v_pk_mov_b32 v[2:3], s[18:19], s[18:19] op_sel:[0,1]
	flat_load_dwordx2 v[6:7], v[2:3]
.LBB3_4:
	s_waitcnt vmcnt(0) lgkmcnt(0)
	v_cmp_neq_f64_e32 vcc, 0, v[4:5]
	v_cmp_neq_f64_e64 s[0:1], 1.0, v[6:7]
	s_or_b64 s[0:1], vcc, s[0:1]
	s_and_saveexec_b64 s[2:3], s[0:1]
	s_cbranch_execz .LBB3_56
; %bb.5:
	s_load_dwordx4 s[12:15], s[4:5], 0x0
	s_mov_b32 s20, 0
	s_mov_b32 s36, 0
	;; [unrolled: 1-line block ×3, first 2 shown]
	s_waitcnt lgkmcnt(0)
	s_cmp_lt_i32 s6, s14
	s_cselect_b64 s[18:19], -1, 0
	s_cmp_ge_i32 s6, s14
	s_cbranch_scc1 .LBB3_7
; %bb.6:
	s_load_dwordx2 s[2:3], s[4:5], 0x18
	s_mov_b32 s0, s7
	s_ashr_i32 s7, s6, 31
	s_lshl_b64 s[8:9], s[6:7], 2
	s_mov_b32 s7, s0
	s_waitcnt lgkmcnt(0)
	s_add_u32 s0, s2, s8
	s_addc_u32 s1, s3, s9
	s_load_dwordx2 s[0:1], s[0:1], 0x0
	s_waitcnt lgkmcnt(0)
	s_sub_i32 s36, s0, s28
	s_sub_i32 s29, s1, s28
.LBB3_7:
	s_load_dwordx2 s[30:31], s[4:5], 0x50
	s_load_dwordx2 s[34:35], s[4:5], 0x30
	v_bfe_u32 v14, v0, 10, 10
	v_lshl_add_u32 v10, s7, 4, v14
	s_mov_b32 s21, s20
	v_add_u32_e32 v8, 8, v10
	v_and_b32_e32 v12, 0x3ff, v0
	s_mov_b32 s22, s20
	s_mov_b32 s23, s20
	v_pk_mov_b32 v[0:1], s[20:21], s[20:21] op_sel:[0,1]
	v_cmp_gt_i32_e64 s[2:3], s15, v10
	v_cmp_gt_i32_e64 s[0:1], s15, v8
	s_waitcnt lgkmcnt(0)
	v_cmp_gt_i32_e64 s[8:9], s34, v12
	s_cmp_ge_i32 s36, s29
	v_pk_mov_b32 v[2:3], s[22:23], s[22:23] op_sel:[0,1]
	s_cbranch_scc1 .LBB3_45
; %bb.8:
	v_cmp_gt_i32_e32 vcc, s35, v14
	s_and_b64 s[40:41], s[8:9], vcc
	s_cmpk_lg_i32 s13, 0x6f
	s_cselect_b64 s[14:15], -1, 0
	s_cmp_eq_u32 s12, 0
	v_mov_b32_e32 v15, 0x400
	v_mad_u64_u32 v[0:1], s[12:13], v14, s34, v[12:13]
	v_mad_u64_u32 v[2:3], s[12:13], v12, s35, v[14:15]
	s_cselect_b64 vcc, -1, 0
	s_cmp_gt_i32 s35, 0
	s_cselect_b64 s[12:13], -1, 0
	s_load_dwordx4 s[20:23], s[4:5], 0x20
	s_load_dwordx2 s[38:39], s[4:5], 0x38
	v_lshlrev_b32_e32 v9, 3, v14
	v_lshl_add_u32 v1, v12, 3, v14
	v_ashrrev_i32_e32 v11, 31, v10
	s_and_b64 s[42:43], s[2:3], s[12:13]
	s_and_b64 s[44:45], s[0:1], s[12:13]
	s_and_b32 s33, s35, 7
	s_mov_b32 s24, 0
	v_lshl_add_u32 v13, v1, 3, v15
	v_add_lshl_u32 v26, v9, v12, 3
	v_ashrrev_i32_e32 v9, 31, v8
	v_mul_lo_u32 v1, v10, s17
	v_mul_lo_u32 v3, v11, s16
	v_mad_u64_u32 v[18:19], s[26:27], v10, s16, 0
	s_cmp_gt_u32 s35, 7
	v_add3_u32 v19, v19, v1, v3
	v_mul_lo_u32 v1, v8, s17
	v_mul_lo_u32 v3, v9, s16
	v_mad_u64_u32 v[20:21], s[26:27], v8, s16, 0
	s_cselect_b64 s[46:47], -1, 0
	s_and_b32 s52, s35, 0x7ffffff8
	s_mov_b32 s25, s24
	v_add3_u32 v21, v21, v1, v3
	v_cndmask_b32_e32 v27, v0, v2, vcc
	s_cmp_lg_u32 s33, 0
	v_lshlrev_b32_e32 v28, 6, v14
	s_mov_b32 s26, s24
	s_mov_b32 s27, s24
	v_pk_mov_b32 v[0:1], s[24:25], s[24:25] op_sel:[0,1]
	v_cndmask_b32_e64 v14, 0, 1, s[14:15]
	s_mul_i32 s7, s35, s34
	v_cmp_gt_i32_e64 s[10:11], s35, v12
	s_cselect_b64 s[48:49], -1, 0
	v_lshl_add_u32 v29, v12, 6, v15
	v_add_u32_e32 v30, 0x200, v28
	v_pk_mov_b32 v[2:3], s[26:27], s[26:27] op_sel:[0,1]
	v_cmp_ne_u32_e64 s[12:13], 1, v14
	v_lshlrev_b64 v[14:15], 3, v[10:11]
	v_lshlrev_b64 v[16:17], 3, v[8:9]
	;; [unrolled: 1-line block ×4, first 2 shown]
	s_branch .LBB3_11
.LBB3_9:                                ;   in Loop: Header=BB3_11 Depth=1
	s_or_b64 exec, exec, s[26:27]
.LBB3_10:                               ;   in Loop: Header=BB3_11 Depth=1
	s_or_b64 exec, exec, s[24:25]
	s_add_i32 s36, s36, 1
	s_cmp_ge_i32 s36, s29
	s_waitcnt lgkmcnt(0)
	; wave barrier
	s_cbranch_scc1 .LBB3_45
.LBB3_11:                               ; =>This Loop Header: Depth=1
                                        ;     Child Loop BB3_32 Depth 2
                                        ;     Child Loop BB3_36 Depth 2
	;; [unrolled: 1-line block ×4, first 2 shown]
	s_and_saveexec_b64 s[14:15], s[10:11]
	s_cbranch_execz .LBB3_26
; %bb.12:                               ;   in Loop: Header=BB3_11 Depth=1
	s_ashr_i32 s37, s36, 31
	s_lshl_b64 s[24:25], s[36:37], 2
	s_waitcnt lgkmcnt(0)
	s_add_u32 s24, s20, s24
	s_addc_u32 s25, s21, s25
	s_load_dword s24, s[24:25], 0x0
	s_and_b64 vcc, exec, s[12:13]
	s_waitcnt lgkmcnt(0)
	s_sub_i32 s24, s24, s28
	s_mul_i32 s24, s24, s35
	v_add_u32_e32 v22, s24, v12
	v_ashrrev_i32_e32 v23, 31, v22
	s_cbranch_vccnz .LBB3_18
; %bb.13:                               ;   in Loop: Header=BB3_11 Depth=1
	v_mul_lo_u32 v9, v23, s16
	v_mul_lo_u32 v11, v22, s17
	v_mad_u64_u32 v[24:25], s[24:25], v22, s16, 0
	v_add3_u32 v25, v25, v11, v9
	v_lshlrev_b64 v[24:25], 3, v[24:25]
	v_mov_b32_e32 v11, s39
	v_add_co_u32_e32 v9, vcc, s38, v24
	v_addc_co_u32_e32 v11, vcc, v11, v25, vcc
	s_and_saveexec_b64 s[24:25], s[2:3]
	s_cbranch_execz .LBB3_15
; %bb.14:                               ;   in Loop: Header=BB3_11 Depth=1
	v_add_co_u32_e32 v24, vcc, v9, v14
	v_addc_co_u32_e32 v25, vcc, v11, v15, vcc
	global_load_dwordx2 v[24:25], v[24:25], off
	s_waitcnt vmcnt(0)
	ds_write_b64 v26, v[24:25]
.LBB3_15:                               ;   in Loop: Header=BB3_11 Depth=1
	s_or_b64 exec, exec, s[24:25]
	s_mov_b64 s[26:27], 0
	s_mov_b64 s[24:25], 0
                                        ; implicit-def: $vgpr24_vgpr25
	s_and_saveexec_b64 s[50:51], s[0:1]
	s_xor_b64 s[50:51], exec, s[50:51]
; %bb.16:                               ;   in Loop: Header=BB3_11 Depth=1
	v_add_co_u32_e32 v24, vcc, v9, v16
	s_mov_b64 s[24:25], exec
	v_addc_co_u32_e32 v25, vcc, v11, v17, vcc
; %bb.17:                               ;   in Loop: Header=BB3_11 Depth=1
	s_or_b64 exec, exec, s[50:51]
	s_and_b64 vcc, exec, s[26:27]
	s_cbranch_vccnz .LBB3_19
	s_branch .LBB3_24
.LBB3_18:                               ;   in Loop: Header=BB3_11 Depth=1
	s_mov_b64 s[24:25], 0
                                        ; implicit-def: $vgpr24_vgpr25
	s_cbranch_execz .LBB3_24
.LBB3_19:                               ;   in Loop: Header=BB3_11 Depth=1
	v_lshlrev_b64 v[22:23], 3, v[22:23]
	v_mov_b32_e32 v11, s39
	v_add_co_u32_e32 v9, vcc, s38, v22
	v_addc_co_u32_e32 v11, vcc, v11, v23, vcc
	s_and_saveexec_b64 s[26:27], s[2:3]
	s_cbranch_execz .LBB3_21
; %bb.20:                               ;   in Loop: Header=BB3_11 Depth=1
	v_add_co_u32_e32 v22, vcc, v9, v18
	v_addc_co_u32_e32 v23, vcc, v11, v19, vcc
	global_load_dwordx2 v[22:23], v[22:23], off
	s_waitcnt vmcnt(0)
	ds_write_b64 v26, v[22:23]
.LBB3_21:                               ;   in Loop: Header=BB3_11 Depth=1
	s_or_b64 exec, exec, s[26:27]
                                        ; implicit-def: $vgpr24_vgpr25
	s_and_saveexec_b64 s[26:27], s[0:1]
; %bb.22:                               ;   in Loop: Header=BB3_11 Depth=1
	v_add_co_u32_e32 v24, vcc, v9, v20
	v_addc_co_u32_e32 v25, vcc, v11, v21, vcc
	s_or_b64 s[24:25], s[24:25], exec
; %bb.23:                               ;   in Loop: Header=BB3_11 Depth=1
	s_or_b64 exec, exec, s[26:27]
.LBB3_24:                               ;   in Loop: Header=BB3_11 Depth=1
	s_and_b64 exec, exec, s[24:25]
	s_cbranch_execz .LBB3_26
; %bb.25:                               ;   in Loop: Header=BB3_11 Depth=1
	global_load_dwordx2 v[22:23], v[24:25], off
	s_waitcnt vmcnt(0)
	ds_write_b64 v26, v[22:23] offset:512
.LBB3_26:                               ;   in Loop: Header=BB3_11 Depth=1
	s_or_b64 exec, exec, s[14:15]
	s_and_saveexec_b64 s[14:15], s[40:41]
	s_cbranch_execz .LBB3_28
; %bb.27:                               ;   in Loop: Header=BB3_11 Depth=1
	s_mul_i32 s24, s7, s36
	v_add_u32_e32 v22, s24, v27
	v_ashrrev_i32_e32 v23, 31, v22
	v_lshlrev_b64 v[22:23], 3, v[22:23]
	s_waitcnt lgkmcnt(0)
	v_mov_b32_e32 v9, s23
	v_add_co_u32_e32 v22, vcc, s22, v22
	v_addc_co_u32_e32 v23, vcc, v9, v23, vcc
	global_load_dwordx2 v[22:23], v[22:23], off
	s_waitcnt vmcnt(0)
	ds_write_b64 v13, v[22:23]
.LBB3_28:                               ;   in Loop: Header=BB3_11 Depth=1
	s_or_b64 exec, exec, s[14:15]
	s_waitcnt lgkmcnt(0)
	; wave barrier
	s_waitcnt lgkmcnt(0)
	s_and_saveexec_b64 s[24:25], s[8:9]
	s_cbranch_execz .LBB3_10
; %bb.29:                               ;   in Loop: Header=BB3_11 Depth=1
	v_cndmask_b32_e64 v9, 0, 1, s[46:47]
	v_cmp_ne_u32_e64 s[14:15], 1, v9
	s_and_saveexec_b64 s[26:27], s[42:43]
	s_cbranch_execz .LBB3_37
; %bb.30:                               ;   in Loop: Header=BB3_11 Depth=1
	s_mov_b32 s37, 0
	s_and_b64 vcc, exec, s[14:15]
	s_cbranch_vccnz .LBB3_34
; %bb.31:                               ;   in Loop: Header=BB3_11 Depth=1
	v_mov_b32_e32 v9, v29
	v_mov_b32_e32 v11, v28
.LBB3_32:                               ;   Parent Loop BB3_11 Depth=1
                                        ; =>  This Inner Loop Header: Depth=2
	ds_read_b128 v[22:25], v9
	ds_read_b128 v[32:35], v9 offset:16
	ds_read_b128 v[36:39], v9 offset:32
	;; [unrolled: 1-line block ×3, first 2 shown]
	ds_read_b128 v[44:47], v11
	ds_read_b128 v[48:51], v11 offset:16
	ds_read_b128 v[52:55], v11 offset:32
	ds_read_b128 v[56:59], v11 offset:48
	s_add_i32 s37, s37, 8
	s_waitcnt lgkmcnt(3)
	v_fmac_f64_e32 v[0:1], v[22:23], v[44:45]
	v_fmac_f64_e32 v[0:1], v[24:25], v[46:47]
	s_waitcnt lgkmcnt(2)
	v_fmac_f64_e32 v[0:1], v[32:33], v[48:49]
	v_fmac_f64_e32 v[0:1], v[34:35], v[50:51]
	;; [unrolled: 3-line block ×3, first 2 shown]
	s_waitcnt lgkmcnt(0)
	v_fmac_f64_e32 v[0:1], v[40:41], v[56:57]
	v_add_u32_e32 v11, 64, v11
	v_add_u32_e32 v9, 64, v9
	s_cmp_lg_u32 s52, s37
	v_fmac_f64_e32 v[0:1], v[42:43], v[58:59]
	s_cbranch_scc1 .LBB3_32
; %bb.33:                               ;   in Loop: Header=BB3_11 Depth=1
	s_mov_b32 s37, s52
.LBB3_34:                               ;   in Loop: Header=BB3_11 Depth=1
	s_andn2_b64 vcc, exec, s[48:49]
	s_cbranch_vccnz .LBB3_37
; %bb.35:                               ;   in Loop: Header=BB3_11 Depth=1
	s_lshl_b32 s37, s37, 3
	v_add_u32_e32 v9, s37, v28
	v_add_u32_e32 v11, s37, v29
	s_mov_b32 s37, s33
.LBB3_36:                               ;   Parent Loop BB3_11 Depth=1
                                        ; =>  This Inner Loop Header: Depth=2
	ds_read_b64 v[22:23], v11
	ds_read_b64 v[24:25], v9
	s_add_i32 s37, s37, -1
	v_add_u32_e32 v9, 8, v9
	v_add_u32_e32 v11, 8, v11
	s_cmp_lg_u32 s37, 0
	s_waitcnt lgkmcnt(0)
	v_fmac_f64_e32 v[0:1], v[22:23], v[24:25]
	s_cbranch_scc1 .LBB3_36
.LBB3_37:                               ;   in Loop: Header=BB3_11 Depth=1
	s_or_b64 exec, exec, s[26:27]
	s_and_saveexec_b64 s[26:27], s[44:45]
	s_cbranch_execz .LBB3_9
; %bb.38:                               ;   in Loop: Header=BB3_11 Depth=1
	s_and_b64 vcc, exec, s[14:15]
	s_cbranch_vccnz .LBB3_42
; %bb.39:                               ;   in Loop: Header=BB3_11 Depth=1
	s_mov_b32 s14, 0
	v_mov_b32_e32 v9, v29
	v_mov_b32_e32 v11, v30
.LBB3_40:                               ;   Parent Loop BB3_11 Depth=1
                                        ; =>  This Inner Loop Header: Depth=2
	ds_read_b128 v[22:25], v9
	ds_read_b128 v[32:35], v9 offset:16
	ds_read_b128 v[36:39], v9 offset:32
	;; [unrolled: 1-line block ×3, first 2 shown]
	ds_read_b128 v[44:47], v11
	ds_read_b128 v[48:51], v11 offset:16
	ds_read_b128 v[52:55], v11 offset:32
	;; [unrolled: 1-line block ×3, first 2 shown]
	s_add_i32 s14, s14, 8
	s_waitcnt lgkmcnt(3)
	v_fmac_f64_e32 v[2:3], v[22:23], v[44:45]
	v_fmac_f64_e32 v[2:3], v[24:25], v[46:47]
	s_waitcnt lgkmcnt(2)
	v_fmac_f64_e32 v[2:3], v[32:33], v[48:49]
	v_fmac_f64_e32 v[2:3], v[34:35], v[50:51]
	;; [unrolled: 3-line block ×3, first 2 shown]
	s_waitcnt lgkmcnt(0)
	v_fmac_f64_e32 v[2:3], v[40:41], v[56:57]
	v_add_u32_e32 v11, 64, v11
	v_add_u32_e32 v9, 64, v9
	s_cmp_lg_u32 s52, s14
	v_fmac_f64_e32 v[2:3], v[42:43], v[58:59]
	s_cbranch_scc1 .LBB3_40
; %bb.41:                               ;   in Loop: Header=BB3_11 Depth=1
	s_mov_b32 s14, s52
	s_andn2_b64 vcc, exec, s[48:49]
	s_cbranch_vccz .LBB3_43
	s_branch .LBB3_9
.LBB3_42:                               ;   in Loop: Header=BB3_11 Depth=1
	s_mov_b32 s14, 0
	s_andn2_b64 vcc, exec, s[48:49]
	s_cbranch_vccnz .LBB3_9
.LBB3_43:                               ;   in Loop: Header=BB3_11 Depth=1
	s_lshl_b32 s14, s14, 3
	v_add_u32_e32 v9, s14, v30
	v_add_u32_e32 v11, s14, v29
	s_mov_b32 s14, s33
.LBB3_44:                               ;   Parent Loop BB3_11 Depth=1
                                        ; =>  This Inner Loop Header: Depth=2
	ds_read_b64 v[22:23], v11
	ds_read_b64 v[24:25], v9
	s_add_i32 s14, s14, -1
	v_add_u32_e32 v9, 8, v9
	v_add_u32_e32 v11, 8, v11
	s_cmp_lg_u32 s14, 0
	s_waitcnt lgkmcnt(0)
	v_fmac_f64_e32 v[2:3], v[22:23], v[24:25]
	s_cbranch_scc1 .LBB3_44
	s_branch .LBB3_9
.LBB3_45:
	s_and_b64 s[8:9], s[18:19], s[8:9]
	s_and_b64 exec, exec, s[8:9]
	s_cbranch_execz .LBB3_56
; %bb.46:
	s_mul_i32 s6, s6, s34
	v_add_u32_e32 v12, s6, v12
	s_load_dwordx2 s[6:7], s[4:5], 0x58
	v_ashrrev_i32_e32 v13, 31, v12
	v_lshlrev_b64 v[12:13], 3, v[12:13]
	v_mov_b32_e32 v11, s31
	v_add_co_u32_e64 v9, s[4:5], s30, v12
	v_cmp_neq_f64_e32 vcc, 0, v[6:7]
	v_addc_co_u32_e64 v11, s[4:5], v11, v13, s[4:5]
	s_and_saveexec_b64 s[4:5], s[2:3]
	s_cbranch_execz .LBB3_51
; %bb.47:
	s_and_saveexec_b64 s[2:3], vcc
	s_xor_b64 s[8:9], exec, s[2:3]
	s_cbranch_execz .LBB3_49
; %bb.48:
	v_ashrrev_i32_e32 v12, 31, v10
	s_waitcnt lgkmcnt(0)
	v_mul_lo_u32 v14, v10, s7
	v_mul_lo_u32 v15, v12, s6
	v_mad_u64_u32 v[12:13], s[2:3], v10, s6, 0
	v_add3_u32 v13, v13, v14, v15
	v_lshlrev_b64 v[12:13], 3, v[12:13]
	v_add_co_u32_e64 v12, s[2:3], v9, v12
	v_addc_co_u32_e64 v13, s[2:3], v11, v13, s[2:3]
	global_load_dwordx2 v[14:15], v[12:13], off
	v_mul_f64 v[16:17], v[4:5], v[0:1]
                                        ; implicit-def: $vgpr10
	s_waitcnt vmcnt(0)
	v_fmac_f64_e32 v[16:17], v[6:7], v[14:15]
	global_store_dwordx2 v[12:13], v[16:17], off
.LBB3_49:
	s_andn2_saveexec_b64 s[2:3], s[8:9]
	s_cbranch_execz .LBB3_51
; %bb.50:
	v_ashrrev_i32_e32 v12, 31, v10
	s_waitcnt lgkmcnt(0)
	v_mul_lo_u32 v14, v10, s7
	v_mul_lo_u32 v15, v12, s6
	v_mad_u64_u32 v[12:13], s[2:3], v10, s6, 0
	v_add3_u32 v13, v13, v14, v15
	v_lshlrev_b64 v[12:13], 3, v[12:13]
	v_add_co_u32_e64 v12, s[2:3], v9, v12
	v_mul_f64 v[0:1], v[4:5], v[0:1]
	v_addc_co_u32_e64 v13, s[2:3], v11, v13, s[2:3]
	global_store_dwordx2 v[12:13], v[0:1], off
.LBB3_51:
	s_or_b64 exec, exec, s[4:5]
	s_and_b64 exec, exec, s[0:1]
	s_cbranch_execz .LBB3_56
; %bb.52:
	s_and_saveexec_b64 s[0:1], vcc
	s_xor_b64 s[0:1], exec, s[0:1]
	s_cbranch_execz .LBB3_54
; %bb.53:
	v_ashrrev_i32_e32 v0, 31, v8
	s_waitcnt lgkmcnt(0)
	v_mul_lo_u32 v10, v8, s7
	v_mul_lo_u32 v12, v0, s6
	v_mad_u64_u32 v[0:1], s[2:3], v8, s6, 0
	v_add3_u32 v1, v1, v10, v12
	v_lshlrev_b64 v[0:1], 3, v[0:1]
	v_add_co_u32_e32 v0, vcc, v9, v0
	v_addc_co_u32_e32 v1, vcc, v11, v1, vcc
	global_load_dwordx2 v[8:9], v[0:1], off
	v_mul_f64 v[2:3], v[4:5], v[2:3]
                                        ; implicit-def: $vgpr4_vgpr5
                                        ; implicit-def: $vgpr11
	s_waitcnt vmcnt(0)
	v_fmac_f64_e32 v[2:3], v[6:7], v[8:9]
	global_store_dwordx2 v[0:1], v[2:3], off
                                        ; implicit-def: $vgpr0_vgpr1_vgpr2_vgpr3
                                        ; implicit-def: $vgpr8
                                        ; implicit-def: $vgpr9
.LBB3_54:
	s_andn2_saveexec_b64 s[0:1], s[0:1]
	s_cbranch_execz .LBB3_56
; %bb.55:
	v_mul_f64 v[0:1], v[4:5], v[2:3]
	v_ashrrev_i32_e32 v2, 31, v8
	s_waitcnt lgkmcnt(0)
	v_mul_lo_u32 v4, v8, s7
	v_mul_lo_u32 v5, v2, s6
	v_mad_u64_u32 v[2:3], s[0:1], v8, s6, 0
	v_add3_u32 v3, v3, v4, v5
	v_lshlrev_b64 v[2:3], 3, v[2:3]
	v_add_co_u32_e32 v2, vcc, v9, v2
	v_addc_co_u32_e32 v3, vcc, v11, v3, vcc
	global_store_dwordx2 v[2:3], v[0:1], off
.LBB3_56:
	s_endpgm
	.section	.rodata,"a",@progbits
	.p2align	6, 0x0
	.amdhsa_kernel _ZN9rocsparseL33gebsrmm_large_blockdim_kernel_extILi8ELi8ELi2EdEEv20rocsparse_direction_20rocsparse_operation_iiNS_24const_host_device_scalarIT2_EEPKiS7_PKS4_iiS9_lS5_PS4_l21rocsparse_index_base_b
		.amdhsa_group_segment_fixed_size 1536
		.amdhsa_private_segment_fixed_size 0
		.amdhsa_kernarg_size 104
		.amdhsa_user_sgpr_count 6
		.amdhsa_user_sgpr_private_segment_buffer 1
		.amdhsa_user_sgpr_dispatch_ptr 0
		.amdhsa_user_sgpr_queue_ptr 0
		.amdhsa_user_sgpr_kernarg_segment_ptr 1
		.amdhsa_user_sgpr_dispatch_id 0
		.amdhsa_user_sgpr_flat_scratch_init 0
		.amdhsa_user_sgpr_kernarg_preload_length 0
		.amdhsa_user_sgpr_kernarg_preload_offset 0
		.amdhsa_user_sgpr_private_segment_size 0
		.amdhsa_uses_dynamic_stack 0
		.amdhsa_system_sgpr_private_segment_wavefront_offset 0
		.amdhsa_system_sgpr_workgroup_id_x 1
		.amdhsa_system_sgpr_workgroup_id_y 1
		.amdhsa_system_sgpr_workgroup_id_z 0
		.amdhsa_system_sgpr_workgroup_info 0
		.amdhsa_system_vgpr_workitem_id 1
		.amdhsa_next_free_vgpr 60
		.amdhsa_next_free_sgpr 53
		.amdhsa_accum_offset 60
		.amdhsa_reserve_vcc 1
		.amdhsa_reserve_flat_scratch 0
		.amdhsa_float_round_mode_32 0
		.amdhsa_float_round_mode_16_64 0
		.amdhsa_float_denorm_mode_32 3
		.amdhsa_float_denorm_mode_16_64 3
		.amdhsa_dx10_clamp 1
		.amdhsa_ieee_mode 1
		.amdhsa_fp16_overflow 0
		.amdhsa_tg_split 0
		.amdhsa_exception_fp_ieee_invalid_op 0
		.amdhsa_exception_fp_denorm_src 0
		.amdhsa_exception_fp_ieee_div_zero 0
		.amdhsa_exception_fp_ieee_overflow 0
		.amdhsa_exception_fp_ieee_underflow 0
		.amdhsa_exception_fp_ieee_inexact 0
		.amdhsa_exception_int_div_zero 0
	.end_amdhsa_kernel
	.section	.text._ZN9rocsparseL33gebsrmm_large_blockdim_kernel_extILi8ELi8ELi2EdEEv20rocsparse_direction_20rocsparse_operation_iiNS_24const_host_device_scalarIT2_EEPKiS7_PKS4_iiS9_lS5_PS4_l21rocsparse_index_base_b,"axG",@progbits,_ZN9rocsparseL33gebsrmm_large_blockdim_kernel_extILi8ELi8ELi2EdEEv20rocsparse_direction_20rocsparse_operation_iiNS_24const_host_device_scalarIT2_EEPKiS7_PKS4_iiS9_lS5_PS4_l21rocsparse_index_base_b,comdat
.Lfunc_end3:
	.size	_ZN9rocsparseL33gebsrmm_large_blockdim_kernel_extILi8ELi8ELi2EdEEv20rocsparse_direction_20rocsparse_operation_iiNS_24const_host_device_scalarIT2_EEPKiS7_PKS4_iiS9_lS5_PS4_l21rocsparse_index_base_b, .Lfunc_end3-_ZN9rocsparseL33gebsrmm_large_blockdim_kernel_extILi8ELi8ELi2EdEEv20rocsparse_direction_20rocsparse_operation_iiNS_24const_host_device_scalarIT2_EEPKiS7_PKS4_iiS9_lS5_PS4_l21rocsparse_index_base_b
                                        ; -- End function
	.section	.AMDGPU.csdata,"",@progbits
; Kernel info:
; codeLenInByte = 2060
; NumSgprs: 57
; NumVgprs: 60
; NumAgprs: 0
; TotalNumVgprs: 60
; ScratchSize: 0
; MemoryBound: 0
; FloatMode: 240
; IeeeMode: 1
; LDSByteSize: 1536 bytes/workgroup (compile time only)
; SGPRBlocks: 7
; VGPRBlocks: 7
; NumSGPRsForWavesPerEU: 57
; NumVGPRsForWavesPerEU: 60
; AccumOffset: 60
; Occupancy: 8
; WaveLimiterHint : 1
; COMPUTE_PGM_RSRC2:SCRATCH_EN: 0
; COMPUTE_PGM_RSRC2:USER_SGPR: 6
; COMPUTE_PGM_RSRC2:TRAP_HANDLER: 0
; COMPUTE_PGM_RSRC2:TGID_X_EN: 1
; COMPUTE_PGM_RSRC2:TGID_Y_EN: 1
; COMPUTE_PGM_RSRC2:TGID_Z_EN: 0
; COMPUTE_PGM_RSRC2:TIDIG_COMP_CNT: 1
; COMPUTE_PGM_RSRC3_GFX90A:ACCUM_OFFSET: 14
; COMPUTE_PGM_RSRC3_GFX90A:TG_SPLIT: 0
	.section	.text._ZN9rocsparseL33gebsrmm_large_blockdim_kernel_extILi16ELi16ELi2EdEEv20rocsparse_direction_20rocsparse_operation_iiNS_24const_host_device_scalarIT2_EEPKiS7_PKS4_iiS9_lS5_PS4_l21rocsparse_index_base_b,"axG",@progbits,_ZN9rocsparseL33gebsrmm_large_blockdim_kernel_extILi16ELi16ELi2EdEEv20rocsparse_direction_20rocsparse_operation_iiNS_24const_host_device_scalarIT2_EEPKiS7_PKS4_iiS9_lS5_PS4_l21rocsparse_index_base_b,comdat
	.globl	_ZN9rocsparseL33gebsrmm_large_blockdim_kernel_extILi16ELi16ELi2EdEEv20rocsparse_direction_20rocsparse_operation_iiNS_24const_host_device_scalarIT2_EEPKiS7_PKS4_iiS9_lS5_PS4_l21rocsparse_index_base_b ; -- Begin function _ZN9rocsparseL33gebsrmm_large_blockdim_kernel_extILi16ELi16ELi2EdEEv20rocsparse_direction_20rocsparse_operation_iiNS_24const_host_device_scalarIT2_EEPKiS7_PKS4_iiS9_lS5_PS4_l21rocsparse_index_base_b
	.p2align	8
	.type	_ZN9rocsparseL33gebsrmm_large_blockdim_kernel_extILi16ELi16ELi2EdEEv20rocsparse_direction_20rocsparse_operation_iiNS_24const_host_device_scalarIT2_EEPKiS7_PKS4_iiS9_lS5_PS4_l21rocsparse_index_base_b,@function
_ZN9rocsparseL33gebsrmm_large_blockdim_kernel_extILi16ELi16ELi2EdEEv20rocsparse_direction_20rocsparse_operation_iiNS_24const_host_device_scalarIT2_EEPKiS7_PKS4_iiS9_lS5_PS4_l21rocsparse_index_base_b: ; @_ZN9rocsparseL33gebsrmm_large_blockdim_kernel_extILi16ELi16ELi2EdEEv20rocsparse_direction_20rocsparse_operation_iiNS_24const_host_device_scalarIT2_EEPKiS7_PKS4_iiS9_lS5_PS4_l21rocsparse_index_base_b
; %bb.0:
	s_load_dwordx2 s[28:29], s[4:5], 0x60
	s_load_dwordx2 s[2:3], s[4:5], 0x10
	s_load_dwordx4 s[16:19], s[4:5], 0x40
	s_waitcnt lgkmcnt(0)
	s_bitcmp1_b32 s29, 0
	s_cselect_b64 s[8:9], -1, 0
	s_xor_b64 s[0:1], s[8:9], -1
	s_and_b64 vcc, exec, s[8:9]
	v_pk_mov_b32 v[4:5], s[2:3], s[2:3] op_sel:[0,1]
	s_cbranch_vccnz .LBB4_2
; %bb.1:
	v_pk_mov_b32 v[2:3], s[2:3], s[2:3] op_sel:[0,1]
	flat_load_dwordx2 v[4:5], v[2:3]
.LBB4_2:
	s_andn2_b64 vcc, exec, s[0:1]
	v_pk_mov_b32 v[6:7], s[18:19], s[18:19] op_sel:[0,1]
	s_cbranch_vccnz .LBB4_4
; %bb.3:
	v_pk_mov_b32 v[2:3], s[18:19], s[18:19] op_sel:[0,1]
	flat_load_dwordx2 v[6:7], v[2:3]
.LBB4_4:
	s_waitcnt vmcnt(0) lgkmcnt(0)
	v_cmp_neq_f64_e32 vcc, 0, v[4:5]
	v_cmp_neq_f64_e64 s[0:1], 1.0, v[6:7]
	s_or_b64 s[0:1], vcc, s[0:1]
	s_and_saveexec_b64 s[2:3], s[0:1]
	s_cbranch_execz .LBB4_56
; %bb.5:
	s_load_dwordx4 s[12:15], s[4:5], 0x0
	s_mov_b32 s20, 0
	s_mov_b32 s36, 0
	;; [unrolled: 1-line block ×3, first 2 shown]
	s_waitcnt lgkmcnt(0)
	s_cmp_lt_i32 s6, s14
	s_cselect_b64 s[18:19], -1, 0
	s_cmp_ge_i32 s6, s14
	s_cbranch_scc1 .LBB4_7
; %bb.6:
	s_load_dwordx2 s[2:3], s[4:5], 0x18
	s_mov_b32 s0, s7
	s_ashr_i32 s7, s6, 31
	s_lshl_b64 s[8:9], s[6:7], 2
	s_mov_b32 s7, s0
	s_waitcnt lgkmcnt(0)
	s_add_u32 s0, s2, s8
	s_addc_u32 s1, s3, s9
	s_load_dwordx2 s[0:1], s[0:1], 0x0
	s_waitcnt lgkmcnt(0)
	s_sub_i32 s36, s0, s28
	s_sub_i32 s29, s1, s28
.LBB4_7:
	s_load_dwordx2 s[30:31], s[4:5], 0x50
	s_load_dwordx2 s[34:35], s[4:5], 0x30
	v_bfe_u32 v14, v0, 10, 10
	v_lshl_add_u32 v10, s7, 5, v14
	s_mov_b32 s21, s20
	v_add_u32_e32 v8, 16, v10
	v_and_b32_e32 v12, 0x3ff, v0
	s_mov_b32 s22, s20
	s_mov_b32 s23, s20
	v_pk_mov_b32 v[0:1], s[20:21], s[20:21] op_sel:[0,1]
	v_cmp_gt_i32_e64 s[2:3], s15, v10
	v_cmp_gt_i32_e64 s[0:1], s15, v8
	s_waitcnt lgkmcnt(0)
	v_cmp_gt_i32_e64 s[8:9], s34, v12
	s_cmp_ge_i32 s36, s29
	v_pk_mov_b32 v[2:3], s[22:23], s[22:23] op_sel:[0,1]
	s_cbranch_scc1 .LBB4_45
; %bb.8:
	v_cmp_gt_i32_e32 vcc, s35, v14
	s_and_b64 s[40:41], s[8:9], vcc
	s_cmpk_lg_i32 s13, 0x6f
	s_cselect_b64 s[14:15], -1, 0
	s_cmp_eq_u32 s12, 0
	v_mov_b32_e32 v15, 0x1000
	v_mad_u64_u32 v[0:1], s[12:13], v14, s34, v[12:13]
	v_mad_u64_u32 v[2:3], s[12:13], v12, s35, v[14:15]
	s_cselect_b64 vcc, -1, 0
	s_cmp_gt_i32 s35, 0
	s_cselect_b64 s[12:13], -1, 0
	s_load_dwordx4 s[20:23], s[4:5], 0x20
	s_load_dwordx2 s[38:39], s[4:5], 0x38
	v_lshlrev_b32_e32 v9, 4, v14
	v_lshl_add_u32 v1, v12, 4, v14
	v_ashrrev_i32_e32 v11, 31, v10
	s_and_b64 s[42:43], s[2:3], s[12:13]
	s_and_b64 s[44:45], s[0:1], s[12:13]
	s_and_b32 s33, s35, 7
	s_mov_b32 s24, 0
	v_lshl_add_u32 v13, v1, 3, v15
	v_add_lshl_u32 v26, v9, v12, 3
	v_ashrrev_i32_e32 v9, 31, v8
	v_mul_lo_u32 v1, v10, s17
	v_mul_lo_u32 v3, v11, s16
	v_mad_u64_u32 v[18:19], s[26:27], v10, s16, 0
	s_cmp_gt_u32 s35, 7
	v_add3_u32 v19, v19, v1, v3
	v_mul_lo_u32 v1, v8, s17
	v_mul_lo_u32 v3, v9, s16
	v_mad_u64_u32 v[20:21], s[26:27], v8, s16, 0
	s_cselect_b64 s[46:47], -1, 0
	s_and_b32 s52, s35, 0x7ffffff8
	s_mov_b32 s25, s24
	v_add3_u32 v21, v21, v1, v3
	v_cndmask_b32_e32 v27, v0, v2, vcc
	s_cmp_lg_u32 s33, 0
	v_lshlrev_b32_e32 v28, 7, v14
	s_mov_b32 s26, s24
	s_mov_b32 s27, s24
	v_pk_mov_b32 v[0:1], s[24:25], s[24:25] op_sel:[0,1]
	v_cndmask_b32_e64 v14, 0, 1, s[14:15]
	s_mul_i32 s7, s35, s34
	v_cmp_gt_i32_e64 s[10:11], s35, v12
	s_cselect_b64 s[48:49], -1, 0
	v_lshl_add_u32 v29, v12, 7, v15
	v_add_u32_e32 v30, 0x800, v28
	v_pk_mov_b32 v[2:3], s[26:27], s[26:27] op_sel:[0,1]
	v_cmp_ne_u32_e64 s[12:13], 1, v14
	v_lshlrev_b64 v[14:15], 3, v[10:11]
	v_lshlrev_b64 v[16:17], 3, v[8:9]
	;; [unrolled: 1-line block ×4, first 2 shown]
	s_branch .LBB4_11
.LBB4_9:                                ;   in Loop: Header=BB4_11 Depth=1
	s_or_b64 exec, exec, s[26:27]
.LBB4_10:                               ;   in Loop: Header=BB4_11 Depth=1
	s_or_b64 exec, exec, s[24:25]
	s_add_i32 s36, s36, 1
	s_cmp_ge_i32 s36, s29
	s_barrier
	s_cbranch_scc1 .LBB4_45
.LBB4_11:                               ; =>This Loop Header: Depth=1
                                        ;     Child Loop BB4_32 Depth 2
                                        ;     Child Loop BB4_36 Depth 2
	;; [unrolled: 1-line block ×4, first 2 shown]
	s_and_saveexec_b64 s[14:15], s[10:11]
	s_cbranch_execz .LBB4_26
; %bb.12:                               ;   in Loop: Header=BB4_11 Depth=1
	s_ashr_i32 s37, s36, 31
	s_lshl_b64 s[24:25], s[36:37], 2
	s_waitcnt lgkmcnt(0)
	s_add_u32 s24, s20, s24
	s_addc_u32 s25, s21, s25
	s_load_dword s24, s[24:25], 0x0
	s_and_b64 vcc, exec, s[12:13]
	s_waitcnt lgkmcnt(0)
	s_sub_i32 s24, s24, s28
	s_mul_i32 s24, s24, s35
	v_add_u32_e32 v22, s24, v12
	v_ashrrev_i32_e32 v23, 31, v22
	s_cbranch_vccnz .LBB4_18
; %bb.13:                               ;   in Loop: Header=BB4_11 Depth=1
	v_mul_lo_u32 v9, v23, s16
	v_mul_lo_u32 v11, v22, s17
	v_mad_u64_u32 v[24:25], s[24:25], v22, s16, 0
	v_add3_u32 v25, v25, v11, v9
	v_lshlrev_b64 v[24:25], 3, v[24:25]
	v_mov_b32_e32 v11, s39
	v_add_co_u32_e32 v9, vcc, s38, v24
	v_addc_co_u32_e32 v11, vcc, v11, v25, vcc
	s_and_saveexec_b64 s[24:25], s[2:3]
	s_cbranch_execz .LBB4_15
; %bb.14:                               ;   in Loop: Header=BB4_11 Depth=1
	v_add_co_u32_e32 v24, vcc, v9, v14
	v_addc_co_u32_e32 v25, vcc, v11, v15, vcc
	global_load_dwordx2 v[24:25], v[24:25], off
	s_waitcnt vmcnt(0)
	ds_write_b64 v26, v[24:25]
.LBB4_15:                               ;   in Loop: Header=BB4_11 Depth=1
	s_or_b64 exec, exec, s[24:25]
	s_mov_b64 s[26:27], 0
	s_mov_b64 s[24:25], 0
                                        ; implicit-def: $vgpr24_vgpr25
	s_and_saveexec_b64 s[50:51], s[0:1]
	s_xor_b64 s[50:51], exec, s[50:51]
; %bb.16:                               ;   in Loop: Header=BB4_11 Depth=1
	v_add_co_u32_e32 v24, vcc, v9, v16
	s_mov_b64 s[24:25], exec
	v_addc_co_u32_e32 v25, vcc, v11, v17, vcc
; %bb.17:                               ;   in Loop: Header=BB4_11 Depth=1
	s_or_b64 exec, exec, s[50:51]
	s_and_b64 vcc, exec, s[26:27]
	s_cbranch_vccnz .LBB4_19
	s_branch .LBB4_24
.LBB4_18:                               ;   in Loop: Header=BB4_11 Depth=1
	s_mov_b64 s[24:25], 0
                                        ; implicit-def: $vgpr24_vgpr25
	s_cbranch_execz .LBB4_24
.LBB4_19:                               ;   in Loop: Header=BB4_11 Depth=1
	v_lshlrev_b64 v[22:23], 3, v[22:23]
	v_mov_b32_e32 v11, s39
	v_add_co_u32_e32 v9, vcc, s38, v22
	v_addc_co_u32_e32 v11, vcc, v11, v23, vcc
	s_and_saveexec_b64 s[26:27], s[2:3]
	s_cbranch_execz .LBB4_21
; %bb.20:                               ;   in Loop: Header=BB4_11 Depth=1
	v_add_co_u32_e32 v22, vcc, v9, v18
	v_addc_co_u32_e32 v23, vcc, v11, v19, vcc
	global_load_dwordx2 v[22:23], v[22:23], off
	s_waitcnt vmcnt(0)
	ds_write_b64 v26, v[22:23]
.LBB4_21:                               ;   in Loop: Header=BB4_11 Depth=1
	s_or_b64 exec, exec, s[26:27]
                                        ; implicit-def: $vgpr24_vgpr25
	s_and_saveexec_b64 s[26:27], s[0:1]
; %bb.22:                               ;   in Loop: Header=BB4_11 Depth=1
	v_add_co_u32_e32 v24, vcc, v9, v20
	v_addc_co_u32_e32 v25, vcc, v11, v21, vcc
	s_or_b64 s[24:25], s[24:25], exec
; %bb.23:                               ;   in Loop: Header=BB4_11 Depth=1
	s_or_b64 exec, exec, s[26:27]
.LBB4_24:                               ;   in Loop: Header=BB4_11 Depth=1
	s_and_b64 exec, exec, s[24:25]
	s_cbranch_execz .LBB4_26
; %bb.25:                               ;   in Loop: Header=BB4_11 Depth=1
	global_load_dwordx2 v[22:23], v[24:25], off
	s_waitcnt vmcnt(0)
	ds_write_b64 v26, v[22:23] offset:2048
.LBB4_26:                               ;   in Loop: Header=BB4_11 Depth=1
	s_or_b64 exec, exec, s[14:15]
	s_and_saveexec_b64 s[14:15], s[40:41]
	s_cbranch_execz .LBB4_28
; %bb.27:                               ;   in Loop: Header=BB4_11 Depth=1
	s_mul_i32 s24, s7, s36
	v_add_u32_e32 v22, s24, v27
	v_ashrrev_i32_e32 v23, 31, v22
	v_lshlrev_b64 v[22:23], 3, v[22:23]
	s_waitcnt lgkmcnt(0)
	v_mov_b32_e32 v9, s23
	v_add_co_u32_e32 v22, vcc, s22, v22
	v_addc_co_u32_e32 v23, vcc, v9, v23, vcc
	global_load_dwordx2 v[22:23], v[22:23], off
	s_waitcnt vmcnt(0)
	ds_write_b64 v13, v[22:23]
.LBB4_28:                               ;   in Loop: Header=BB4_11 Depth=1
	s_or_b64 exec, exec, s[14:15]
	s_waitcnt lgkmcnt(0)
	s_barrier
	s_and_saveexec_b64 s[24:25], s[8:9]
	s_cbranch_execz .LBB4_10
; %bb.29:                               ;   in Loop: Header=BB4_11 Depth=1
	v_cndmask_b32_e64 v9, 0, 1, s[46:47]
	v_cmp_ne_u32_e64 s[14:15], 1, v9
	s_and_saveexec_b64 s[26:27], s[42:43]
	s_cbranch_execz .LBB4_37
; %bb.30:                               ;   in Loop: Header=BB4_11 Depth=1
	s_mov_b32 s37, 0
	s_and_b64 vcc, exec, s[14:15]
	s_cbranch_vccnz .LBB4_34
; %bb.31:                               ;   in Loop: Header=BB4_11 Depth=1
	v_mov_b32_e32 v9, v29
	v_mov_b32_e32 v11, v28
.LBB4_32:                               ;   Parent Loop BB4_11 Depth=1
                                        ; =>  This Inner Loop Header: Depth=2
	ds_read_b128 v[22:25], v9
	ds_read_b128 v[32:35], v9 offset:16
	ds_read_b128 v[36:39], v9 offset:32
	;; [unrolled: 1-line block ×3, first 2 shown]
	ds_read_b128 v[44:47], v11
	ds_read_b128 v[48:51], v11 offset:16
	ds_read_b128 v[52:55], v11 offset:32
	ds_read_b128 v[56:59], v11 offset:48
	s_add_i32 s37, s37, 8
	s_waitcnt lgkmcnt(3)
	v_fmac_f64_e32 v[0:1], v[22:23], v[44:45]
	v_fmac_f64_e32 v[0:1], v[24:25], v[46:47]
	s_waitcnt lgkmcnt(2)
	v_fmac_f64_e32 v[0:1], v[32:33], v[48:49]
	v_fmac_f64_e32 v[0:1], v[34:35], v[50:51]
	;; [unrolled: 3-line block ×3, first 2 shown]
	s_waitcnt lgkmcnt(0)
	v_fmac_f64_e32 v[0:1], v[40:41], v[56:57]
	v_add_u32_e32 v11, 64, v11
	v_add_u32_e32 v9, 64, v9
	s_cmp_lg_u32 s52, s37
	v_fmac_f64_e32 v[0:1], v[42:43], v[58:59]
	s_cbranch_scc1 .LBB4_32
; %bb.33:                               ;   in Loop: Header=BB4_11 Depth=1
	s_mov_b32 s37, s52
.LBB4_34:                               ;   in Loop: Header=BB4_11 Depth=1
	s_andn2_b64 vcc, exec, s[48:49]
	s_cbranch_vccnz .LBB4_37
; %bb.35:                               ;   in Loop: Header=BB4_11 Depth=1
	s_lshl_b32 s37, s37, 3
	v_add_u32_e32 v9, s37, v28
	v_add_u32_e32 v11, s37, v29
	s_mov_b32 s37, s33
.LBB4_36:                               ;   Parent Loop BB4_11 Depth=1
                                        ; =>  This Inner Loop Header: Depth=2
	ds_read_b64 v[22:23], v11
	ds_read_b64 v[24:25], v9
	s_add_i32 s37, s37, -1
	v_add_u32_e32 v9, 8, v9
	v_add_u32_e32 v11, 8, v11
	s_cmp_lg_u32 s37, 0
	s_waitcnt lgkmcnt(0)
	v_fmac_f64_e32 v[0:1], v[22:23], v[24:25]
	s_cbranch_scc1 .LBB4_36
.LBB4_37:                               ;   in Loop: Header=BB4_11 Depth=1
	s_or_b64 exec, exec, s[26:27]
	s_and_saveexec_b64 s[26:27], s[44:45]
	s_cbranch_execz .LBB4_9
; %bb.38:                               ;   in Loop: Header=BB4_11 Depth=1
	s_and_b64 vcc, exec, s[14:15]
	s_cbranch_vccnz .LBB4_42
; %bb.39:                               ;   in Loop: Header=BB4_11 Depth=1
	s_mov_b32 s14, 0
	v_mov_b32_e32 v9, v29
	v_mov_b32_e32 v11, v30
.LBB4_40:                               ;   Parent Loop BB4_11 Depth=1
                                        ; =>  This Inner Loop Header: Depth=2
	ds_read_b128 v[22:25], v9
	ds_read_b128 v[32:35], v9 offset:16
	ds_read_b128 v[36:39], v9 offset:32
	;; [unrolled: 1-line block ×3, first 2 shown]
	ds_read_b128 v[44:47], v11
	ds_read_b128 v[48:51], v11 offset:16
	ds_read_b128 v[52:55], v11 offset:32
	;; [unrolled: 1-line block ×3, first 2 shown]
	s_add_i32 s14, s14, 8
	s_waitcnt lgkmcnt(3)
	v_fmac_f64_e32 v[2:3], v[22:23], v[44:45]
	v_fmac_f64_e32 v[2:3], v[24:25], v[46:47]
	s_waitcnt lgkmcnt(2)
	v_fmac_f64_e32 v[2:3], v[32:33], v[48:49]
	v_fmac_f64_e32 v[2:3], v[34:35], v[50:51]
	;; [unrolled: 3-line block ×3, first 2 shown]
	s_waitcnt lgkmcnt(0)
	v_fmac_f64_e32 v[2:3], v[40:41], v[56:57]
	v_add_u32_e32 v11, 64, v11
	v_add_u32_e32 v9, 64, v9
	s_cmp_lg_u32 s52, s14
	v_fmac_f64_e32 v[2:3], v[42:43], v[58:59]
	s_cbranch_scc1 .LBB4_40
; %bb.41:                               ;   in Loop: Header=BB4_11 Depth=1
	s_mov_b32 s14, s52
	s_andn2_b64 vcc, exec, s[48:49]
	s_cbranch_vccz .LBB4_43
	s_branch .LBB4_9
.LBB4_42:                               ;   in Loop: Header=BB4_11 Depth=1
	s_mov_b32 s14, 0
	s_andn2_b64 vcc, exec, s[48:49]
	s_cbranch_vccnz .LBB4_9
.LBB4_43:                               ;   in Loop: Header=BB4_11 Depth=1
	s_lshl_b32 s14, s14, 3
	v_add_u32_e32 v9, s14, v30
	v_add_u32_e32 v11, s14, v29
	s_mov_b32 s14, s33
.LBB4_44:                               ;   Parent Loop BB4_11 Depth=1
                                        ; =>  This Inner Loop Header: Depth=2
	ds_read_b64 v[22:23], v11
	ds_read_b64 v[24:25], v9
	s_add_i32 s14, s14, -1
	v_add_u32_e32 v9, 8, v9
	v_add_u32_e32 v11, 8, v11
	s_cmp_lg_u32 s14, 0
	s_waitcnt lgkmcnt(0)
	v_fmac_f64_e32 v[2:3], v[22:23], v[24:25]
	s_cbranch_scc1 .LBB4_44
	s_branch .LBB4_9
.LBB4_45:
	s_and_b64 s[8:9], s[18:19], s[8:9]
	s_and_b64 exec, exec, s[8:9]
	s_cbranch_execz .LBB4_56
; %bb.46:
	s_mul_i32 s6, s6, s34
	v_add_u32_e32 v12, s6, v12
	s_load_dwordx2 s[6:7], s[4:5], 0x58
	v_ashrrev_i32_e32 v13, 31, v12
	v_lshlrev_b64 v[12:13], 3, v[12:13]
	v_mov_b32_e32 v11, s31
	v_add_co_u32_e64 v9, s[4:5], s30, v12
	v_cmp_neq_f64_e32 vcc, 0, v[6:7]
	v_addc_co_u32_e64 v11, s[4:5], v11, v13, s[4:5]
	s_and_saveexec_b64 s[4:5], s[2:3]
	s_cbranch_execz .LBB4_51
; %bb.47:
	s_and_saveexec_b64 s[2:3], vcc
	s_xor_b64 s[8:9], exec, s[2:3]
	s_cbranch_execz .LBB4_49
; %bb.48:
	v_ashrrev_i32_e32 v12, 31, v10
	s_waitcnt lgkmcnt(0)
	v_mul_lo_u32 v14, v10, s7
	v_mul_lo_u32 v15, v12, s6
	v_mad_u64_u32 v[12:13], s[2:3], v10, s6, 0
	v_add3_u32 v13, v13, v14, v15
	v_lshlrev_b64 v[12:13], 3, v[12:13]
	v_add_co_u32_e64 v12, s[2:3], v9, v12
	v_addc_co_u32_e64 v13, s[2:3], v11, v13, s[2:3]
	global_load_dwordx2 v[14:15], v[12:13], off
	v_mul_f64 v[16:17], v[4:5], v[0:1]
                                        ; implicit-def: $vgpr10
	s_waitcnt vmcnt(0)
	v_fmac_f64_e32 v[16:17], v[6:7], v[14:15]
	global_store_dwordx2 v[12:13], v[16:17], off
.LBB4_49:
	s_andn2_saveexec_b64 s[2:3], s[8:9]
	s_cbranch_execz .LBB4_51
; %bb.50:
	v_ashrrev_i32_e32 v12, 31, v10
	s_waitcnt lgkmcnt(0)
	v_mul_lo_u32 v14, v10, s7
	v_mul_lo_u32 v15, v12, s6
	v_mad_u64_u32 v[12:13], s[2:3], v10, s6, 0
	v_add3_u32 v13, v13, v14, v15
	v_lshlrev_b64 v[12:13], 3, v[12:13]
	v_add_co_u32_e64 v12, s[2:3], v9, v12
	v_mul_f64 v[0:1], v[4:5], v[0:1]
	v_addc_co_u32_e64 v13, s[2:3], v11, v13, s[2:3]
	global_store_dwordx2 v[12:13], v[0:1], off
.LBB4_51:
	s_or_b64 exec, exec, s[4:5]
	s_and_b64 exec, exec, s[0:1]
	s_cbranch_execz .LBB4_56
; %bb.52:
	s_and_saveexec_b64 s[0:1], vcc
	s_xor_b64 s[0:1], exec, s[0:1]
	s_cbranch_execz .LBB4_54
; %bb.53:
	v_ashrrev_i32_e32 v0, 31, v8
	s_waitcnt lgkmcnt(0)
	v_mul_lo_u32 v10, v8, s7
	v_mul_lo_u32 v12, v0, s6
	v_mad_u64_u32 v[0:1], s[2:3], v8, s6, 0
	v_add3_u32 v1, v1, v10, v12
	v_lshlrev_b64 v[0:1], 3, v[0:1]
	v_add_co_u32_e32 v0, vcc, v9, v0
	v_addc_co_u32_e32 v1, vcc, v11, v1, vcc
	global_load_dwordx2 v[8:9], v[0:1], off
	v_mul_f64 v[2:3], v[4:5], v[2:3]
                                        ; implicit-def: $vgpr4_vgpr5
                                        ; implicit-def: $vgpr11
	s_waitcnt vmcnt(0)
	v_fmac_f64_e32 v[2:3], v[6:7], v[8:9]
	global_store_dwordx2 v[0:1], v[2:3], off
                                        ; implicit-def: $vgpr0_vgpr1_vgpr2_vgpr3
                                        ; implicit-def: $vgpr8
                                        ; implicit-def: $vgpr9
.LBB4_54:
	s_andn2_saveexec_b64 s[0:1], s[0:1]
	s_cbranch_execz .LBB4_56
; %bb.55:
	v_mul_f64 v[0:1], v[4:5], v[2:3]
	v_ashrrev_i32_e32 v2, 31, v8
	s_waitcnt lgkmcnt(0)
	v_mul_lo_u32 v4, v8, s7
	v_mul_lo_u32 v5, v2, s6
	v_mad_u64_u32 v[2:3], s[0:1], v8, s6, 0
	v_add3_u32 v3, v3, v4, v5
	v_lshlrev_b64 v[2:3], 3, v[2:3]
	v_add_co_u32_e32 v2, vcc, v9, v2
	v_addc_co_u32_e32 v3, vcc, v11, v3, vcc
	global_store_dwordx2 v[2:3], v[0:1], off
.LBB4_56:
	s_endpgm
	.section	.rodata,"a",@progbits
	.p2align	6, 0x0
	.amdhsa_kernel _ZN9rocsparseL33gebsrmm_large_blockdim_kernel_extILi16ELi16ELi2EdEEv20rocsparse_direction_20rocsparse_operation_iiNS_24const_host_device_scalarIT2_EEPKiS7_PKS4_iiS9_lS5_PS4_l21rocsparse_index_base_b
		.amdhsa_group_segment_fixed_size 6144
		.amdhsa_private_segment_fixed_size 0
		.amdhsa_kernarg_size 104
		.amdhsa_user_sgpr_count 6
		.amdhsa_user_sgpr_private_segment_buffer 1
		.amdhsa_user_sgpr_dispatch_ptr 0
		.amdhsa_user_sgpr_queue_ptr 0
		.amdhsa_user_sgpr_kernarg_segment_ptr 1
		.amdhsa_user_sgpr_dispatch_id 0
		.amdhsa_user_sgpr_flat_scratch_init 0
		.amdhsa_user_sgpr_kernarg_preload_length 0
		.amdhsa_user_sgpr_kernarg_preload_offset 0
		.amdhsa_user_sgpr_private_segment_size 0
		.amdhsa_uses_dynamic_stack 0
		.amdhsa_system_sgpr_private_segment_wavefront_offset 0
		.amdhsa_system_sgpr_workgroup_id_x 1
		.amdhsa_system_sgpr_workgroup_id_y 1
		.amdhsa_system_sgpr_workgroup_id_z 0
		.amdhsa_system_sgpr_workgroup_info 0
		.amdhsa_system_vgpr_workitem_id 1
		.amdhsa_next_free_vgpr 60
		.amdhsa_next_free_sgpr 53
		.amdhsa_accum_offset 60
		.amdhsa_reserve_vcc 1
		.amdhsa_reserve_flat_scratch 0
		.amdhsa_float_round_mode_32 0
		.amdhsa_float_round_mode_16_64 0
		.amdhsa_float_denorm_mode_32 3
		.amdhsa_float_denorm_mode_16_64 3
		.amdhsa_dx10_clamp 1
		.amdhsa_ieee_mode 1
		.amdhsa_fp16_overflow 0
		.amdhsa_tg_split 0
		.amdhsa_exception_fp_ieee_invalid_op 0
		.amdhsa_exception_fp_denorm_src 0
		.amdhsa_exception_fp_ieee_div_zero 0
		.amdhsa_exception_fp_ieee_overflow 0
		.amdhsa_exception_fp_ieee_underflow 0
		.amdhsa_exception_fp_ieee_inexact 0
		.amdhsa_exception_int_div_zero 0
	.end_amdhsa_kernel
	.section	.text._ZN9rocsparseL33gebsrmm_large_blockdim_kernel_extILi16ELi16ELi2EdEEv20rocsparse_direction_20rocsparse_operation_iiNS_24const_host_device_scalarIT2_EEPKiS7_PKS4_iiS9_lS5_PS4_l21rocsparse_index_base_b,"axG",@progbits,_ZN9rocsparseL33gebsrmm_large_blockdim_kernel_extILi16ELi16ELi2EdEEv20rocsparse_direction_20rocsparse_operation_iiNS_24const_host_device_scalarIT2_EEPKiS7_PKS4_iiS9_lS5_PS4_l21rocsparse_index_base_b,comdat
.Lfunc_end4:
	.size	_ZN9rocsparseL33gebsrmm_large_blockdim_kernel_extILi16ELi16ELi2EdEEv20rocsparse_direction_20rocsparse_operation_iiNS_24const_host_device_scalarIT2_EEPKiS7_PKS4_iiS9_lS5_PS4_l21rocsparse_index_base_b, .Lfunc_end4-_ZN9rocsparseL33gebsrmm_large_blockdim_kernel_extILi16ELi16ELi2EdEEv20rocsparse_direction_20rocsparse_operation_iiNS_24const_host_device_scalarIT2_EEPKiS7_PKS4_iiS9_lS5_PS4_l21rocsparse_index_base_b
                                        ; -- End function
	.section	.AMDGPU.csdata,"",@progbits
; Kernel info:
; codeLenInByte = 2060
; NumSgprs: 57
; NumVgprs: 60
; NumAgprs: 0
; TotalNumVgprs: 60
; ScratchSize: 0
; MemoryBound: 0
; FloatMode: 240
; IeeeMode: 1
; LDSByteSize: 6144 bytes/workgroup (compile time only)
; SGPRBlocks: 7
; VGPRBlocks: 7
; NumSGPRsForWavesPerEU: 57
; NumVGPRsForWavesPerEU: 60
; AccumOffset: 60
; Occupancy: 8
; WaveLimiterHint : 1
; COMPUTE_PGM_RSRC2:SCRATCH_EN: 0
; COMPUTE_PGM_RSRC2:USER_SGPR: 6
; COMPUTE_PGM_RSRC2:TRAP_HANDLER: 0
; COMPUTE_PGM_RSRC2:TGID_X_EN: 1
; COMPUTE_PGM_RSRC2:TGID_Y_EN: 1
; COMPUTE_PGM_RSRC2:TGID_Z_EN: 0
; COMPUTE_PGM_RSRC2:TIDIG_COMP_CNT: 1
; COMPUTE_PGM_RSRC3_GFX90A:ACCUM_OFFSET: 14
; COMPUTE_PGM_RSRC3_GFX90A:TG_SPLIT: 0
	.section	.text._ZN9rocsparseL33gebsrmm_large_blockdim_kernel_extILi32ELi32ELi2EdEEv20rocsparse_direction_20rocsparse_operation_iiNS_24const_host_device_scalarIT2_EEPKiS7_PKS4_iiS9_lS5_PS4_l21rocsparse_index_base_b,"axG",@progbits,_ZN9rocsparseL33gebsrmm_large_blockdim_kernel_extILi32ELi32ELi2EdEEv20rocsparse_direction_20rocsparse_operation_iiNS_24const_host_device_scalarIT2_EEPKiS7_PKS4_iiS9_lS5_PS4_l21rocsparse_index_base_b,comdat
	.globl	_ZN9rocsparseL33gebsrmm_large_blockdim_kernel_extILi32ELi32ELi2EdEEv20rocsparse_direction_20rocsparse_operation_iiNS_24const_host_device_scalarIT2_EEPKiS7_PKS4_iiS9_lS5_PS4_l21rocsparse_index_base_b ; -- Begin function _ZN9rocsparseL33gebsrmm_large_blockdim_kernel_extILi32ELi32ELi2EdEEv20rocsparse_direction_20rocsparse_operation_iiNS_24const_host_device_scalarIT2_EEPKiS7_PKS4_iiS9_lS5_PS4_l21rocsparse_index_base_b
	.p2align	8
	.type	_ZN9rocsparseL33gebsrmm_large_blockdim_kernel_extILi32ELi32ELi2EdEEv20rocsparse_direction_20rocsparse_operation_iiNS_24const_host_device_scalarIT2_EEPKiS7_PKS4_iiS9_lS5_PS4_l21rocsparse_index_base_b,@function
_ZN9rocsparseL33gebsrmm_large_blockdim_kernel_extILi32ELi32ELi2EdEEv20rocsparse_direction_20rocsparse_operation_iiNS_24const_host_device_scalarIT2_EEPKiS7_PKS4_iiS9_lS5_PS4_l21rocsparse_index_base_b: ; @_ZN9rocsparseL33gebsrmm_large_blockdim_kernel_extILi32ELi32ELi2EdEEv20rocsparse_direction_20rocsparse_operation_iiNS_24const_host_device_scalarIT2_EEPKiS7_PKS4_iiS9_lS5_PS4_l21rocsparse_index_base_b
; %bb.0:
	s_load_dwordx2 s[28:29], s[4:5], 0x60
	s_load_dwordx2 s[2:3], s[4:5], 0x10
	s_load_dwordx4 s[16:19], s[4:5], 0x40
	s_waitcnt lgkmcnt(0)
	s_bitcmp1_b32 s29, 0
	s_cselect_b64 s[8:9], -1, 0
	s_xor_b64 s[0:1], s[8:9], -1
	s_and_b64 vcc, exec, s[8:9]
	v_pk_mov_b32 v[4:5], s[2:3], s[2:3] op_sel:[0,1]
	s_cbranch_vccnz .LBB5_2
; %bb.1:
	v_pk_mov_b32 v[2:3], s[2:3], s[2:3] op_sel:[0,1]
	flat_load_dwordx2 v[4:5], v[2:3]
.LBB5_2:
	s_andn2_b64 vcc, exec, s[0:1]
	v_pk_mov_b32 v[6:7], s[18:19], s[18:19] op_sel:[0,1]
	s_cbranch_vccnz .LBB5_4
; %bb.3:
	v_pk_mov_b32 v[2:3], s[18:19], s[18:19] op_sel:[0,1]
	flat_load_dwordx2 v[6:7], v[2:3]
.LBB5_4:
	s_waitcnt vmcnt(0) lgkmcnt(0)
	v_cmp_neq_f64_e32 vcc, 0, v[4:5]
	v_cmp_neq_f64_e64 s[0:1], 1.0, v[6:7]
	s_or_b64 s[0:1], vcc, s[0:1]
	s_and_saveexec_b64 s[2:3], s[0:1]
	s_cbranch_execz .LBB5_56
; %bb.5:
	s_load_dwordx4 s[12:15], s[4:5], 0x0
	s_mov_b32 s20, 0
	s_mov_b32 s36, 0
	;; [unrolled: 1-line block ×3, first 2 shown]
	s_waitcnt lgkmcnt(0)
	s_cmp_lt_i32 s6, s14
	s_cselect_b64 s[18:19], -1, 0
	s_cmp_ge_i32 s6, s14
	s_cbranch_scc1 .LBB5_7
; %bb.6:
	s_load_dwordx2 s[2:3], s[4:5], 0x18
	s_mov_b32 s0, s7
	s_ashr_i32 s7, s6, 31
	s_lshl_b64 s[8:9], s[6:7], 2
	s_mov_b32 s7, s0
	s_waitcnt lgkmcnt(0)
	s_add_u32 s0, s2, s8
	s_addc_u32 s1, s3, s9
	s_load_dwordx2 s[0:1], s[0:1], 0x0
	s_waitcnt lgkmcnt(0)
	s_sub_i32 s36, s0, s28
	s_sub_i32 s29, s1, s28
.LBB5_7:
	s_load_dwordx2 s[30:31], s[4:5], 0x50
	s_load_dwordx2 s[34:35], s[4:5], 0x30
	v_bfe_u32 v14, v0, 10, 10
	v_lshl_add_u32 v10, s7, 6, v14
	s_mov_b32 s21, s20
	v_add_u32_e32 v8, 32, v10
	v_and_b32_e32 v12, 0x3ff, v0
	s_mov_b32 s22, s20
	s_mov_b32 s23, s20
	v_pk_mov_b32 v[0:1], s[20:21], s[20:21] op_sel:[0,1]
	v_cmp_gt_i32_e64 s[2:3], s15, v10
	v_cmp_gt_i32_e64 s[0:1], s15, v8
	s_waitcnt lgkmcnt(0)
	v_cmp_gt_i32_e64 s[8:9], s34, v12
	s_cmp_ge_i32 s36, s29
	v_pk_mov_b32 v[2:3], s[22:23], s[22:23] op_sel:[0,1]
	s_cbranch_scc1 .LBB5_45
; %bb.8:
	v_cmp_gt_i32_e32 vcc, s35, v14
	s_and_b64 s[40:41], s[8:9], vcc
	s_cmpk_lg_i32 s13, 0x6f
	s_cselect_b64 s[14:15], -1, 0
	s_cmp_eq_u32 s12, 0
	v_mov_b32_e32 v15, 0x4000
	v_mad_u64_u32 v[0:1], s[12:13], v14, s34, v[12:13]
	v_mad_u64_u32 v[2:3], s[12:13], v12, s35, v[14:15]
	s_cselect_b64 vcc, -1, 0
	s_cmp_gt_i32 s35, 0
	s_cselect_b64 s[12:13], -1, 0
	s_load_dwordx4 s[20:23], s[4:5], 0x20
	s_load_dwordx2 s[38:39], s[4:5], 0x38
	v_lshlrev_b32_e32 v9, 5, v14
	v_lshl_add_u32 v1, v12, 5, v14
	v_ashrrev_i32_e32 v11, 31, v10
	s_and_b64 s[42:43], s[2:3], s[12:13]
	s_and_b64 s[44:45], s[0:1], s[12:13]
	s_and_b32 s33, s35, 7
	s_mov_b32 s24, 0
	v_lshl_add_u32 v13, v1, 3, v15
	v_add_lshl_u32 v26, v9, v12, 3
	v_ashrrev_i32_e32 v9, 31, v8
	v_mul_lo_u32 v1, v10, s17
	v_mul_lo_u32 v3, v11, s16
	v_mad_u64_u32 v[18:19], s[26:27], v10, s16, 0
	s_cmp_gt_u32 s35, 7
	v_add3_u32 v19, v19, v1, v3
	v_mul_lo_u32 v1, v8, s17
	v_mul_lo_u32 v3, v9, s16
	v_mad_u64_u32 v[20:21], s[26:27], v8, s16, 0
	s_cselect_b64 s[46:47], -1, 0
	s_and_b32 s52, s35, 0x7ffffff8
	s_mov_b32 s25, s24
	v_add3_u32 v21, v21, v1, v3
	v_cndmask_b32_e32 v27, v0, v2, vcc
	s_cmp_lg_u32 s33, 0
	v_lshlrev_b32_e32 v28, 8, v14
	s_mov_b32 s26, s24
	s_mov_b32 s27, s24
	v_pk_mov_b32 v[0:1], s[24:25], s[24:25] op_sel:[0,1]
	v_cndmask_b32_e64 v14, 0, 1, s[14:15]
	s_mul_i32 s7, s35, s34
	v_cmp_gt_i32_e64 s[10:11], s35, v12
	s_cselect_b64 s[48:49], -1, 0
	v_lshl_add_u32 v29, v12, 8, v15
	v_add_u32_e32 v30, 0x2000, v28
	v_pk_mov_b32 v[2:3], s[26:27], s[26:27] op_sel:[0,1]
	v_cmp_ne_u32_e64 s[12:13], 1, v14
	v_lshlrev_b64 v[14:15], 3, v[10:11]
	v_lshlrev_b64 v[16:17], 3, v[8:9]
	;; [unrolled: 1-line block ×4, first 2 shown]
	s_branch .LBB5_11
.LBB5_9:                                ;   in Loop: Header=BB5_11 Depth=1
	s_or_b64 exec, exec, s[26:27]
.LBB5_10:                               ;   in Loop: Header=BB5_11 Depth=1
	s_or_b64 exec, exec, s[24:25]
	s_add_i32 s36, s36, 1
	s_cmp_ge_i32 s36, s29
	s_barrier
	s_cbranch_scc1 .LBB5_45
.LBB5_11:                               ; =>This Loop Header: Depth=1
                                        ;     Child Loop BB5_32 Depth 2
                                        ;     Child Loop BB5_36 Depth 2
	;; [unrolled: 1-line block ×4, first 2 shown]
	s_and_saveexec_b64 s[14:15], s[10:11]
	s_cbranch_execz .LBB5_26
; %bb.12:                               ;   in Loop: Header=BB5_11 Depth=1
	s_ashr_i32 s37, s36, 31
	s_lshl_b64 s[24:25], s[36:37], 2
	s_waitcnt lgkmcnt(0)
	s_add_u32 s24, s20, s24
	s_addc_u32 s25, s21, s25
	s_load_dword s24, s[24:25], 0x0
	s_and_b64 vcc, exec, s[12:13]
	s_waitcnt lgkmcnt(0)
	s_sub_i32 s24, s24, s28
	s_mul_i32 s24, s24, s35
	v_add_u32_e32 v22, s24, v12
	v_ashrrev_i32_e32 v23, 31, v22
	s_cbranch_vccnz .LBB5_18
; %bb.13:                               ;   in Loop: Header=BB5_11 Depth=1
	v_mul_lo_u32 v9, v23, s16
	v_mul_lo_u32 v11, v22, s17
	v_mad_u64_u32 v[24:25], s[24:25], v22, s16, 0
	v_add3_u32 v25, v25, v11, v9
	v_lshlrev_b64 v[24:25], 3, v[24:25]
	v_mov_b32_e32 v11, s39
	v_add_co_u32_e32 v9, vcc, s38, v24
	v_addc_co_u32_e32 v11, vcc, v11, v25, vcc
	s_and_saveexec_b64 s[24:25], s[2:3]
	s_cbranch_execz .LBB5_15
; %bb.14:                               ;   in Loop: Header=BB5_11 Depth=1
	v_add_co_u32_e32 v24, vcc, v9, v14
	v_addc_co_u32_e32 v25, vcc, v11, v15, vcc
	global_load_dwordx2 v[24:25], v[24:25], off
	s_waitcnt vmcnt(0)
	ds_write_b64 v26, v[24:25]
.LBB5_15:                               ;   in Loop: Header=BB5_11 Depth=1
	s_or_b64 exec, exec, s[24:25]
	s_mov_b64 s[26:27], 0
	s_mov_b64 s[24:25], 0
                                        ; implicit-def: $vgpr24_vgpr25
	s_and_saveexec_b64 s[50:51], s[0:1]
	s_xor_b64 s[50:51], exec, s[50:51]
; %bb.16:                               ;   in Loop: Header=BB5_11 Depth=1
	v_add_co_u32_e32 v24, vcc, v9, v16
	s_mov_b64 s[24:25], exec
	v_addc_co_u32_e32 v25, vcc, v11, v17, vcc
; %bb.17:                               ;   in Loop: Header=BB5_11 Depth=1
	s_or_b64 exec, exec, s[50:51]
	s_and_b64 vcc, exec, s[26:27]
	s_cbranch_vccnz .LBB5_19
	s_branch .LBB5_24
.LBB5_18:                               ;   in Loop: Header=BB5_11 Depth=1
	s_mov_b64 s[24:25], 0
                                        ; implicit-def: $vgpr24_vgpr25
	s_cbranch_execz .LBB5_24
.LBB5_19:                               ;   in Loop: Header=BB5_11 Depth=1
	v_lshlrev_b64 v[22:23], 3, v[22:23]
	v_mov_b32_e32 v11, s39
	v_add_co_u32_e32 v9, vcc, s38, v22
	v_addc_co_u32_e32 v11, vcc, v11, v23, vcc
	s_and_saveexec_b64 s[26:27], s[2:3]
	s_cbranch_execz .LBB5_21
; %bb.20:                               ;   in Loop: Header=BB5_11 Depth=1
	v_add_co_u32_e32 v22, vcc, v9, v18
	v_addc_co_u32_e32 v23, vcc, v11, v19, vcc
	global_load_dwordx2 v[22:23], v[22:23], off
	s_waitcnt vmcnt(0)
	ds_write_b64 v26, v[22:23]
.LBB5_21:                               ;   in Loop: Header=BB5_11 Depth=1
	s_or_b64 exec, exec, s[26:27]
                                        ; implicit-def: $vgpr24_vgpr25
	s_and_saveexec_b64 s[26:27], s[0:1]
; %bb.22:                               ;   in Loop: Header=BB5_11 Depth=1
	v_add_co_u32_e32 v24, vcc, v9, v20
	v_addc_co_u32_e32 v25, vcc, v11, v21, vcc
	s_or_b64 s[24:25], s[24:25], exec
; %bb.23:                               ;   in Loop: Header=BB5_11 Depth=1
	s_or_b64 exec, exec, s[26:27]
.LBB5_24:                               ;   in Loop: Header=BB5_11 Depth=1
	s_and_b64 exec, exec, s[24:25]
	s_cbranch_execz .LBB5_26
; %bb.25:                               ;   in Loop: Header=BB5_11 Depth=1
	global_load_dwordx2 v[22:23], v[24:25], off
	s_waitcnt vmcnt(0)
	ds_write_b64 v26, v[22:23] offset:8192
.LBB5_26:                               ;   in Loop: Header=BB5_11 Depth=1
	s_or_b64 exec, exec, s[14:15]
	s_and_saveexec_b64 s[14:15], s[40:41]
	s_cbranch_execz .LBB5_28
; %bb.27:                               ;   in Loop: Header=BB5_11 Depth=1
	s_mul_i32 s24, s7, s36
	v_add_u32_e32 v22, s24, v27
	v_ashrrev_i32_e32 v23, 31, v22
	v_lshlrev_b64 v[22:23], 3, v[22:23]
	s_waitcnt lgkmcnt(0)
	v_mov_b32_e32 v9, s23
	v_add_co_u32_e32 v22, vcc, s22, v22
	v_addc_co_u32_e32 v23, vcc, v9, v23, vcc
	global_load_dwordx2 v[22:23], v[22:23], off
	s_waitcnt vmcnt(0)
	ds_write_b64 v13, v[22:23]
.LBB5_28:                               ;   in Loop: Header=BB5_11 Depth=1
	s_or_b64 exec, exec, s[14:15]
	s_waitcnt lgkmcnt(0)
	s_barrier
	s_and_saveexec_b64 s[24:25], s[8:9]
	s_cbranch_execz .LBB5_10
; %bb.29:                               ;   in Loop: Header=BB5_11 Depth=1
	v_cndmask_b32_e64 v9, 0, 1, s[46:47]
	v_cmp_ne_u32_e64 s[14:15], 1, v9
	s_and_saveexec_b64 s[26:27], s[42:43]
	s_cbranch_execz .LBB5_37
; %bb.30:                               ;   in Loop: Header=BB5_11 Depth=1
	s_mov_b32 s37, 0
	s_and_b64 vcc, exec, s[14:15]
	s_cbranch_vccnz .LBB5_34
; %bb.31:                               ;   in Loop: Header=BB5_11 Depth=1
	v_mov_b32_e32 v9, v29
	v_mov_b32_e32 v11, v28
.LBB5_32:                               ;   Parent Loop BB5_11 Depth=1
                                        ; =>  This Inner Loop Header: Depth=2
	ds_read_b128 v[22:25], v9
	ds_read_b128 v[32:35], v9 offset:16
	ds_read_b128 v[36:39], v9 offset:32
	;; [unrolled: 1-line block ×3, first 2 shown]
	ds_read_b128 v[44:47], v11
	ds_read_b128 v[48:51], v11 offset:16
	ds_read_b128 v[52:55], v11 offset:32
	;; [unrolled: 1-line block ×3, first 2 shown]
	s_add_i32 s37, s37, 8
	s_waitcnt lgkmcnt(3)
	v_fmac_f64_e32 v[0:1], v[22:23], v[44:45]
	v_fmac_f64_e32 v[0:1], v[24:25], v[46:47]
	s_waitcnt lgkmcnt(2)
	v_fmac_f64_e32 v[0:1], v[32:33], v[48:49]
	v_fmac_f64_e32 v[0:1], v[34:35], v[50:51]
	;; [unrolled: 3-line block ×3, first 2 shown]
	s_waitcnt lgkmcnt(0)
	v_fmac_f64_e32 v[0:1], v[40:41], v[56:57]
	v_add_u32_e32 v11, 64, v11
	v_add_u32_e32 v9, 64, v9
	s_cmp_lg_u32 s52, s37
	v_fmac_f64_e32 v[0:1], v[42:43], v[58:59]
	s_cbranch_scc1 .LBB5_32
; %bb.33:                               ;   in Loop: Header=BB5_11 Depth=1
	s_mov_b32 s37, s52
.LBB5_34:                               ;   in Loop: Header=BB5_11 Depth=1
	s_andn2_b64 vcc, exec, s[48:49]
	s_cbranch_vccnz .LBB5_37
; %bb.35:                               ;   in Loop: Header=BB5_11 Depth=1
	s_lshl_b32 s37, s37, 3
	v_add_u32_e32 v9, s37, v28
	v_add_u32_e32 v11, s37, v29
	s_mov_b32 s37, s33
.LBB5_36:                               ;   Parent Loop BB5_11 Depth=1
                                        ; =>  This Inner Loop Header: Depth=2
	ds_read_b64 v[22:23], v11
	ds_read_b64 v[24:25], v9
	s_add_i32 s37, s37, -1
	v_add_u32_e32 v9, 8, v9
	v_add_u32_e32 v11, 8, v11
	s_cmp_lg_u32 s37, 0
	s_waitcnt lgkmcnt(0)
	v_fmac_f64_e32 v[0:1], v[22:23], v[24:25]
	s_cbranch_scc1 .LBB5_36
.LBB5_37:                               ;   in Loop: Header=BB5_11 Depth=1
	s_or_b64 exec, exec, s[26:27]
	s_and_saveexec_b64 s[26:27], s[44:45]
	s_cbranch_execz .LBB5_9
; %bb.38:                               ;   in Loop: Header=BB5_11 Depth=1
	s_and_b64 vcc, exec, s[14:15]
	s_cbranch_vccnz .LBB5_42
; %bb.39:                               ;   in Loop: Header=BB5_11 Depth=1
	s_mov_b32 s14, 0
	v_mov_b32_e32 v9, v29
	v_mov_b32_e32 v11, v30
.LBB5_40:                               ;   Parent Loop BB5_11 Depth=1
                                        ; =>  This Inner Loop Header: Depth=2
	ds_read_b128 v[22:25], v9
	ds_read_b128 v[32:35], v9 offset:16
	ds_read_b128 v[36:39], v9 offset:32
	;; [unrolled: 1-line block ×3, first 2 shown]
	ds_read_b128 v[44:47], v11
	ds_read_b128 v[48:51], v11 offset:16
	ds_read_b128 v[52:55], v11 offset:32
	ds_read_b128 v[56:59], v11 offset:48
	s_add_i32 s14, s14, 8
	s_waitcnt lgkmcnt(3)
	v_fmac_f64_e32 v[2:3], v[22:23], v[44:45]
	v_fmac_f64_e32 v[2:3], v[24:25], v[46:47]
	s_waitcnt lgkmcnt(2)
	v_fmac_f64_e32 v[2:3], v[32:33], v[48:49]
	v_fmac_f64_e32 v[2:3], v[34:35], v[50:51]
	;; [unrolled: 3-line block ×3, first 2 shown]
	s_waitcnt lgkmcnt(0)
	v_fmac_f64_e32 v[2:3], v[40:41], v[56:57]
	v_add_u32_e32 v11, 64, v11
	v_add_u32_e32 v9, 64, v9
	s_cmp_lg_u32 s52, s14
	v_fmac_f64_e32 v[2:3], v[42:43], v[58:59]
	s_cbranch_scc1 .LBB5_40
; %bb.41:                               ;   in Loop: Header=BB5_11 Depth=1
	s_mov_b32 s14, s52
	s_andn2_b64 vcc, exec, s[48:49]
	s_cbranch_vccz .LBB5_43
	s_branch .LBB5_9
.LBB5_42:                               ;   in Loop: Header=BB5_11 Depth=1
	s_mov_b32 s14, 0
	s_andn2_b64 vcc, exec, s[48:49]
	s_cbranch_vccnz .LBB5_9
.LBB5_43:                               ;   in Loop: Header=BB5_11 Depth=1
	s_lshl_b32 s14, s14, 3
	v_add_u32_e32 v9, s14, v30
	v_add_u32_e32 v11, s14, v29
	s_mov_b32 s14, s33
.LBB5_44:                               ;   Parent Loop BB5_11 Depth=1
                                        ; =>  This Inner Loop Header: Depth=2
	ds_read_b64 v[22:23], v11
	ds_read_b64 v[24:25], v9
	s_add_i32 s14, s14, -1
	v_add_u32_e32 v9, 8, v9
	v_add_u32_e32 v11, 8, v11
	s_cmp_lg_u32 s14, 0
	s_waitcnt lgkmcnt(0)
	v_fmac_f64_e32 v[2:3], v[22:23], v[24:25]
	s_cbranch_scc1 .LBB5_44
	s_branch .LBB5_9
.LBB5_45:
	s_and_b64 s[8:9], s[18:19], s[8:9]
	s_and_b64 exec, exec, s[8:9]
	s_cbranch_execz .LBB5_56
; %bb.46:
	s_mul_i32 s6, s6, s34
	v_add_u32_e32 v12, s6, v12
	s_load_dwordx2 s[6:7], s[4:5], 0x58
	v_ashrrev_i32_e32 v13, 31, v12
	v_lshlrev_b64 v[12:13], 3, v[12:13]
	v_mov_b32_e32 v11, s31
	v_add_co_u32_e64 v9, s[4:5], s30, v12
	v_cmp_neq_f64_e32 vcc, 0, v[6:7]
	v_addc_co_u32_e64 v11, s[4:5], v11, v13, s[4:5]
	s_and_saveexec_b64 s[4:5], s[2:3]
	s_cbranch_execz .LBB5_51
; %bb.47:
	s_and_saveexec_b64 s[2:3], vcc
	s_xor_b64 s[8:9], exec, s[2:3]
	s_cbranch_execz .LBB5_49
; %bb.48:
	v_ashrrev_i32_e32 v12, 31, v10
	s_waitcnt lgkmcnt(0)
	v_mul_lo_u32 v14, v10, s7
	v_mul_lo_u32 v15, v12, s6
	v_mad_u64_u32 v[12:13], s[2:3], v10, s6, 0
	v_add3_u32 v13, v13, v14, v15
	v_lshlrev_b64 v[12:13], 3, v[12:13]
	v_add_co_u32_e64 v12, s[2:3], v9, v12
	v_addc_co_u32_e64 v13, s[2:3], v11, v13, s[2:3]
	global_load_dwordx2 v[14:15], v[12:13], off
	v_mul_f64 v[16:17], v[4:5], v[0:1]
                                        ; implicit-def: $vgpr10
	s_waitcnt vmcnt(0)
	v_fmac_f64_e32 v[16:17], v[6:7], v[14:15]
	global_store_dwordx2 v[12:13], v[16:17], off
.LBB5_49:
	s_andn2_saveexec_b64 s[2:3], s[8:9]
	s_cbranch_execz .LBB5_51
; %bb.50:
	v_ashrrev_i32_e32 v12, 31, v10
	s_waitcnt lgkmcnt(0)
	v_mul_lo_u32 v14, v10, s7
	v_mul_lo_u32 v15, v12, s6
	v_mad_u64_u32 v[12:13], s[2:3], v10, s6, 0
	v_add3_u32 v13, v13, v14, v15
	v_lshlrev_b64 v[12:13], 3, v[12:13]
	v_add_co_u32_e64 v12, s[2:3], v9, v12
	v_mul_f64 v[0:1], v[4:5], v[0:1]
	v_addc_co_u32_e64 v13, s[2:3], v11, v13, s[2:3]
	global_store_dwordx2 v[12:13], v[0:1], off
.LBB5_51:
	s_or_b64 exec, exec, s[4:5]
	s_and_b64 exec, exec, s[0:1]
	s_cbranch_execz .LBB5_56
; %bb.52:
	s_and_saveexec_b64 s[0:1], vcc
	s_xor_b64 s[0:1], exec, s[0:1]
	s_cbranch_execz .LBB5_54
; %bb.53:
	v_ashrrev_i32_e32 v0, 31, v8
	s_waitcnt lgkmcnt(0)
	v_mul_lo_u32 v10, v8, s7
	v_mul_lo_u32 v12, v0, s6
	v_mad_u64_u32 v[0:1], s[2:3], v8, s6, 0
	v_add3_u32 v1, v1, v10, v12
	v_lshlrev_b64 v[0:1], 3, v[0:1]
	v_add_co_u32_e32 v0, vcc, v9, v0
	v_addc_co_u32_e32 v1, vcc, v11, v1, vcc
	global_load_dwordx2 v[8:9], v[0:1], off
	v_mul_f64 v[2:3], v[4:5], v[2:3]
                                        ; implicit-def: $vgpr4_vgpr5
                                        ; implicit-def: $vgpr11
	s_waitcnt vmcnt(0)
	v_fmac_f64_e32 v[2:3], v[6:7], v[8:9]
	global_store_dwordx2 v[0:1], v[2:3], off
                                        ; implicit-def: $vgpr0_vgpr1_vgpr2_vgpr3
                                        ; implicit-def: $vgpr8
                                        ; implicit-def: $vgpr9
.LBB5_54:
	s_andn2_saveexec_b64 s[0:1], s[0:1]
	s_cbranch_execz .LBB5_56
; %bb.55:
	v_mul_f64 v[0:1], v[4:5], v[2:3]
	v_ashrrev_i32_e32 v2, 31, v8
	s_waitcnt lgkmcnt(0)
	v_mul_lo_u32 v4, v8, s7
	v_mul_lo_u32 v5, v2, s6
	v_mad_u64_u32 v[2:3], s[0:1], v8, s6, 0
	v_add3_u32 v3, v3, v4, v5
	v_lshlrev_b64 v[2:3], 3, v[2:3]
	v_add_co_u32_e32 v2, vcc, v9, v2
	v_addc_co_u32_e32 v3, vcc, v11, v3, vcc
	global_store_dwordx2 v[2:3], v[0:1], off
.LBB5_56:
	s_endpgm
	.section	.rodata,"a",@progbits
	.p2align	6, 0x0
	.amdhsa_kernel _ZN9rocsparseL33gebsrmm_large_blockdim_kernel_extILi32ELi32ELi2EdEEv20rocsparse_direction_20rocsparse_operation_iiNS_24const_host_device_scalarIT2_EEPKiS7_PKS4_iiS9_lS5_PS4_l21rocsparse_index_base_b
		.amdhsa_group_segment_fixed_size 24576
		.amdhsa_private_segment_fixed_size 0
		.amdhsa_kernarg_size 104
		.amdhsa_user_sgpr_count 6
		.amdhsa_user_sgpr_private_segment_buffer 1
		.amdhsa_user_sgpr_dispatch_ptr 0
		.amdhsa_user_sgpr_queue_ptr 0
		.amdhsa_user_sgpr_kernarg_segment_ptr 1
		.amdhsa_user_sgpr_dispatch_id 0
		.amdhsa_user_sgpr_flat_scratch_init 0
		.amdhsa_user_sgpr_kernarg_preload_length 0
		.amdhsa_user_sgpr_kernarg_preload_offset 0
		.amdhsa_user_sgpr_private_segment_size 0
		.amdhsa_uses_dynamic_stack 0
		.amdhsa_system_sgpr_private_segment_wavefront_offset 0
		.amdhsa_system_sgpr_workgroup_id_x 1
		.amdhsa_system_sgpr_workgroup_id_y 1
		.amdhsa_system_sgpr_workgroup_id_z 0
		.amdhsa_system_sgpr_workgroup_info 0
		.amdhsa_system_vgpr_workitem_id 1
		.amdhsa_next_free_vgpr 60
		.amdhsa_next_free_sgpr 53
		.amdhsa_accum_offset 60
		.amdhsa_reserve_vcc 1
		.amdhsa_reserve_flat_scratch 0
		.amdhsa_float_round_mode_32 0
		.amdhsa_float_round_mode_16_64 0
		.amdhsa_float_denorm_mode_32 3
		.amdhsa_float_denorm_mode_16_64 3
		.amdhsa_dx10_clamp 1
		.amdhsa_ieee_mode 1
		.amdhsa_fp16_overflow 0
		.amdhsa_tg_split 0
		.amdhsa_exception_fp_ieee_invalid_op 0
		.amdhsa_exception_fp_denorm_src 0
		.amdhsa_exception_fp_ieee_div_zero 0
		.amdhsa_exception_fp_ieee_overflow 0
		.amdhsa_exception_fp_ieee_underflow 0
		.amdhsa_exception_fp_ieee_inexact 0
		.amdhsa_exception_int_div_zero 0
	.end_amdhsa_kernel
	.section	.text._ZN9rocsparseL33gebsrmm_large_blockdim_kernel_extILi32ELi32ELi2EdEEv20rocsparse_direction_20rocsparse_operation_iiNS_24const_host_device_scalarIT2_EEPKiS7_PKS4_iiS9_lS5_PS4_l21rocsparse_index_base_b,"axG",@progbits,_ZN9rocsparseL33gebsrmm_large_blockdim_kernel_extILi32ELi32ELi2EdEEv20rocsparse_direction_20rocsparse_operation_iiNS_24const_host_device_scalarIT2_EEPKiS7_PKS4_iiS9_lS5_PS4_l21rocsparse_index_base_b,comdat
.Lfunc_end5:
	.size	_ZN9rocsparseL33gebsrmm_large_blockdim_kernel_extILi32ELi32ELi2EdEEv20rocsparse_direction_20rocsparse_operation_iiNS_24const_host_device_scalarIT2_EEPKiS7_PKS4_iiS9_lS5_PS4_l21rocsparse_index_base_b, .Lfunc_end5-_ZN9rocsparseL33gebsrmm_large_blockdim_kernel_extILi32ELi32ELi2EdEEv20rocsparse_direction_20rocsparse_operation_iiNS_24const_host_device_scalarIT2_EEPKiS7_PKS4_iiS9_lS5_PS4_l21rocsparse_index_base_b
                                        ; -- End function
	.section	.AMDGPU.csdata,"",@progbits
; Kernel info:
; codeLenInByte = 2060
; NumSgprs: 57
; NumVgprs: 60
; NumAgprs: 0
; TotalNumVgprs: 60
; ScratchSize: 0
; MemoryBound: 0
; FloatMode: 240
; IeeeMode: 1
; LDSByteSize: 24576 bytes/workgroup (compile time only)
; SGPRBlocks: 7
; VGPRBlocks: 7
; NumSGPRsForWavesPerEU: 57
; NumVGPRsForWavesPerEU: 60
; AccumOffset: 60
; Occupancy: 8
; WaveLimiterHint : 1
; COMPUTE_PGM_RSRC2:SCRATCH_EN: 0
; COMPUTE_PGM_RSRC2:USER_SGPR: 6
; COMPUTE_PGM_RSRC2:TRAP_HANDLER: 0
; COMPUTE_PGM_RSRC2:TGID_X_EN: 1
; COMPUTE_PGM_RSRC2:TGID_Y_EN: 1
; COMPUTE_PGM_RSRC2:TGID_Z_EN: 0
; COMPUTE_PGM_RSRC2:TIDIG_COMP_CNT: 1
; COMPUTE_PGM_RSRC3_GFX90A:ACCUM_OFFSET: 14
; COMPUTE_PGM_RSRC3_GFX90A:TG_SPLIT: 0
	.section	.text._ZN9rocsparseL33gebsrmm_large_blockdim_kernel_extILi8ELi8ELi2E21rocsparse_complex_numIfEEEv20rocsparse_direction_20rocsparse_operation_iiNS_24const_host_device_scalarIT2_EEPKiS9_PKS6_iiSB_lS7_PS6_l21rocsparse_index_base_b,"axG",@progbits,_ZN9rocsparseL33gebsrmm_large_blockdim_kernel_extILi8ELi8ELi2E21rocsparse_complex_numIfEEEv20rocsparse_direction_20rocsparse_operation_iiNS_24const_host_device_scalarIT2_EEPKiS9_PKS6_iiSB_lS7_PS6_l21rocsparse_index_base_b,comdat
	.globl	_ZN9rocsparseL33gebsrmm_large_blockdim_kernel_extILi8ELi8ELi2E21rocsparse_complex_numIfEEEv20rocsparse_direction_20rocsparse_operation_iiNS_24const_host_device_scalarIT2_EEPKiS9_PKS6_iiSB_lS7_PS6_l21rocsparse_index_base_b ; -- Begin function _ZN9rocsparseL33gebsrmm_large_blockdim_kernel_extILi8ELi8ELi2E21rocsparse_complex_numIfEEEv20rocsparse_direction_20rocsparse_operation_iiNS_24const_host_device_scalarIT2_EEPKiS9_PKS6_iiSB_lS7_PS6_l21rocsparse_index_base_b
	.p2align	8
	.type	_ZN9rocsparseL33gebsrmm_large_blockdim_kernel_extILi8ELi8ELi2E21rocsparse_complex_numIfEEEv20rocsparse_direction_20rocsparse_operation_iiNS_24const_host_device_scalarIT2_EEPKiS9_PKS6_iiSB_lS7_PS6_l21rocsparse_index_base_b,@function
_ZN9rocsparseL33gebsrmm_large_blockdim_kernel_extILi8ELi8ELi2E21rocsparse_complex_numIfEEEv20rocsparse_direction_20rocsparse_operation_iiNS_24const_host_device_scalarIT2_EEPKiS9_PKS6_iiSB_lS7_PS6_l21rocsparse_index_base_b: ; @_ZN9rocsparseL33gebsrmm_large_blockdim_kernel_extILi8ELi8ELi2E21rocsparse_complex_numIfEEEv20rocsparse_direction_20rocsparse_operation_iiNS_24const_host_device_scalarIT2_EEPKiS9_PKS6_iiSB_lS7_PS6_l21rocsparse_index_base_b
; %bb.0:
	s_load_dwordx2 s[24:25], s[4:5], 0x60
	s_load_dwordx2 s[2:3], s[4:5], 0x10
	s_waitcnt lgkmcnt(0)
	s_bitcmp1_b32 s25, 0
	s_cselect_b64 s[0:1], -1, 0
	s_xor_b64 s[8:9], s[0:1], -1
	s_and_b64 vcc, exec, s[0:1]
	v_mov_b32_e32 v2, s2
	s_cbranch_vccnz .LBB6_2
; %bb.1:
	v_pk_mov_b32 v[2:3], s[2:3], s[2:3] op_sel:[0,1]
	flat_load_dword v2, v[2:3]
.LBB6_2:
	s_load_dwordx4 s[16:19], s[4:5], 0x40
	v_cndmask_b32_e64 v1, 0, 1, s[8:9]
	v_cmp_ne_u32_e64 s[0:1], 1, v1
	s_andn2_b64 vcc, exec, s[8:9]
	v_mov_b32_e32 v3, s3
	s_cbranch_vccz .LBB6_49
; %bb.3:
	s_and_b64 vcc, exec, s[0:1]
	s_waitcnt lgkmcnt(0)
	v_mov_b32_e32 v4, s18
	s_cbranch_vccz .LBB6_50
.LBB6_4:
	s_and_b64 vcc, exec, s[0:1]
	v_mov_b32_e32 v5, s19
	s_cbranch_vccnz .LBB6_6
.LBB6_5:
	v_pk_mov_b32 v[6:7], s[18:19], s[18:19] op_sel:[0,1]
	flat_load_dword v5, v[6:7] offset:4
.LBB6_6:
	s_waitcnt vmcnt(0)
	v_and_b32_e32 v1, 0x7fffffff, v2
	v_cmp_eq_u32_e32 vcc, 0, v1
	v_cmp_eq_f32_e64 s[0:1], 0, v3
	s_and_b64 s[8:9], vcc, s[0:1]
	s_mov_b64 s[0:1], -1
	s_and_saveexec_b64 s[2:3], s[8:9]
	s_cbranch_execz .LBB6_8
; %bb.7:
	s_waitcnt lgkmcnt(0)
	v_and_b32_e32 v1, 0x7fffffff, v5
	v_cmp_neq_f32_e32 vcc, 1.0, v4
	v_cmp_ne_u32_e64 s[0:1], 0, v1
	s_or_b64 s[0:1], vcc, s[0:1]
	s_orn2_b64 s[0:1], s[0:1], exec
.LBB6_8:
	s_or_b64 exec, exec, s[2:3]
	s_and_saveexec_b64 s[2:3], s[0:1]
	s_cbranch_execz .LBB6_62
; %bb.9:
	s_load_dwordx4 s[12:15], s[4:5], 0x0
	s_mov_b32 s10, 0
	s_mov_b32 s30, 0
	;; [unrolled: 1-line block ×3, first 2 shown]
	s_waitcnt lgkmcnt(0)
	s_cmp_lt_i32 s6, s14
	s_cselect_b64 s[26:27], -1, 0
	s_cmp_ge_i32 s6, s14
	s_cbranch_scc1 .LBB6_11
; %bb.10:
	s_load_dwordx2 s[2:3], s[4:5], 0x18
	s_mov_b32 s0, s7
	s_ashr_i32 s7, s6, 31
	s_lshl_b64 s[8:9], s[6:7], 2
	s_mov_b32 s7, s0
	s_waitcnt lgkmcnt(0)
	s_add_u32 s0, s2, s8
	s_addc_u32 s1, s3, s9
	s_load_dwordx2 s[0:1], s[0:1], 0x0
	s_waitcnt lgkmcnt(0)
	s_sub_i32 s30, s0, s24
	s_sub_i32 s25, s1, s24
.LBB6_11:
	s_load_dwordx2 s[18:19], s[4:5], 0x50
	s_load_dwordx2 s[28:29], s[4:5], 0x30
	v_bfe_u32 v14, v0, 10, 10
	v_lshl_add_u32 v8, s7, 4, v14
	v_add_u32_e32 v6, 8, v8
	v_and_b32_e32 v10, 0x3ff, v0
	s_mov_b32 s11, s10
	v_cmp_gt_i32_e64 s[2:3], s15, v8
	v_cmp_gt_i32_e64 s[0:1], s15, v6
	s_waitcnt lgkmcnt(0)
	v_cmp_gt_i32_e64 s[8:9], s28, v10
	s_cmp_ge_i32 s30, s25
	v_pk_mov_b32 v[0:1], s[10:11], s[10:11] op_sel:[0,1]
	v_pk_mov_b32 v[12:13], s[10:11], s[10:11] op_sel:[0,1]
	s_cbranch_scc1 .LBB6_51
; %bb.12:
	v_cmp_gt_i32_e32 vcc, s29, v14
	s_and_b64 s[36:37], s[8:9], vcc
	s_cmpk_lg_i32 s13, 0x6f
	s_cselect_b64 s[14:15], -1, 0
	s_cmp_eq_u32 s12, 0
	v_mov_b32_e32 v15, 0x400
	v_mad_u64_u32 v[0:1], s[12:13], v14, s28, v[10:11]
	v_mad_u64_u32 v[12:13], s[12:13], v10, s29, v[14:15]
	s_cselect_b64 vcc, -1, 0
	s_cmp_gt_i32 s29, 0
	s_cselect_b64 s[12:13], -1, 0
	v_mad_u64_u32 v[18:19], s[38:39], v8, s16, 0
	v_mad_u64_u32 v[20:21], s[38:39], v6, s16, 0
	s_load_dwordx4 s[20:23], s[4:5], 0x20
	s_load_dwordx2 s[34:35], s[4:5], 0x38
	v_lshlrev_b32_e32 v7, 3, v14
	v_lshl_add_u32 v1, v10, 3, v14
	v_ashrrev_i32_e32 v9, 31, v8
	s_and_b64 s[38:39], s[2:3], s[12:13]
	s_and_b64 s[40:41], s[0:1], s[12:13]
	s_and_b32 s33, s29, 7
	v_lshl_add_u32 v11, v1, 3, v15
	v_add_lshl_u32 v26, v7, v10, 3
	v_ashrrev_i32_e32 v7, 31, v6
	v_mul_lo_u32 v1, v8, s17
	v_mul_lo_u32 v13, v9, s16
	s_cmp_gt_u32 s29, 7
	s_mov_b32 s46, 0
	v_add3_u32 v19, v19, v1, v13
	v_mul_lo_u32 v1, v6, s17
	v_mul_lo_u32 v13, v7, s16
	s_cselect_b64 s[42:43], -1, 0
	s_and_b32 s52, s29, 0x7ffffff8
	v_add3_u32 v21, v21, v1, v13
	v_cndmask_b32_e32 v27, v0, v12, vcc
	s_cmp_lg_u32 s33, 0
	v_lshlrev_b32_e32 v28, 6, v14
	s_mov_b32 s47, s46
	v_cndmask_b32_e64 v0, 0, 1, s[14:15]
	s_mul_i32 s7, s29, s28
	v_cmp_gt_i32_e64 s[10:11], s29, v10
	s_cselect_b64 s[44:45], -1, 0
	v_lshl_add_u32 v29, v10, 6, v15
	v_add_u32_e32 v30, 0x200, v28
	v_pk_mov_b32 v[12:13], s[46:47], s[46:47] op_sel:[0,1]
	v_cmp_ne_u32_e64 s[12:13], 1, v0
	v_lshlrev_b64 v[14:15], 3, v[8:9]
	v_lshlrev_b64 v[16:17], 3, v[6:7]
	;; [unrolled: 1-line block ×4, first 2 shown]
	v_pk_mov_b32 v[0:1], s[46:47], s[46:47] op_sel:[0,1]
	s_branch .LBB6_15
.LBB6_13:                               ;   in Loop: Header=BB6_15 Depth=1
	s_or_b64 exec, exec, s[48:49]
.LBB6_14:                               ;   in Loop: Header=BB6_15 Depth=1
	s_or_b64 exec, exec, s[46:47]
	s_add_i32 s30, s30, 1
	s_cmp_ge_i32 s30, s25
	s_waitcnt lgkmcnt(0)
	; wave barrier
	s_cbranch_scc1 .LBB6_51
.LBB6_15:                               ; =>This Loop Header: Depth=1
                                        ;     Child Loop BB6_36 Depth 2
                                        ;     Child Loop BB6_40 Depth 2
	;; [unrolled: 1-line block ×4, first 2 shown]
	s_and_saveexec_b64 s[14:15], s[10:11]
	s_cbranch_execz .LBB6_30
; %bb.16:                               ;   in Loop: Header=BB6_15 Depth=1
	s_ashr_i32 s31, s30, 31
	s_lshl_b64 s[46:47], s[30:31], 2
	s_waitcnt lgkmcnt(0)
	s_add_u32 s46, s20, s46
	s_addc_u32 s47, s21, s47
	s_load_dword s31, s[46:47], 0x0
	s_and_b64 vcc, exec, s[12:13]
	s_waitcnt lgkmcnt(0)
	s_sub_i32 s31, s31, s24
	s_mul_i32 s31, s31, s29
	v_add_u32_e32 v22, s31, v10
	v_ashrrev_i32_e32 v23, 31, v22
	s_cbranch_vccnz .LBB6_22
; %bb.17:                               ;   in Loop: Header=BB6_15 Depth=1
	v_mul_lo_u32 v7, v23, s16
	v_mul_lo_u32 v9, v22, s17
	v_mad_u64_u32 v[24:25], s[46:47], v22, s16, 0
	v_add3_u32 v25, v25, v9, v7
	v_lshlrev_b64 v[24:25], 3, v[24:25]
	v_mov_b32_e32 v9, s35
	v_add_co_u32_e32 v7, vcc, s34, v24
	v_addc_co_u32_e32 v9, vcc, v9, v25, vcc
	s_and_saveexec_b64 s[46:47], s[2:3]
	s_cbranch_execz .LBB6_19
; %bb.18:                               ;   in Loop: Header=BB6_15 Depth=1
	v_add_co_u32_e32 v24, vcc, v7, v14
	v_addc_co_u32_e32 v25, vcc, v9, v15, vcc
	global_load_dwordx2 v[24:25], v[24:25], off
	s_waitcnt vmcnt(0)
	ds_write_b64 v26, v[24:25]
.LBB6_19:                               ;   in Loop: Header=BB6_15 Depth=1
	s_or_b64 exec, exec, s[46:47]
	s_mov_b64 s[48:49], 0
	s_mov_b64 s[46:47], 0
                                        ; implicit-def: $vgpr24_vgpr25
	s_and_saveexec_b64 s[50:51], s[0:1]
	s_xor_b64 s[50:51], exec, s[50:51]
; %bb.20:                               ;   in Loop: Header=BB6_15 Depth=1
	v_add_co_u32_e32 v24, vcc, v7, v16
	s_mov_b64 s[46:47], exec
	v_addc_co_u32_e32 v25, vcc, v9, v17, vcc
; %bb.21:                               ;   in Loop: Header=BB6_15 Depth=1
	s_or_b64 exec, exec, s[50:51]
	s_and_b64 vcc, exec, s[48:49]
	s_cbranch_vccnz .LBB6_23
	s_branch .LBB6_28
.LBB6_22:                               ;   in Loop: Header=BB6_15 Depth=1
	s_mov_b64 s[46:47], 0
                                        ; implicit-def: $vgpr24_vgpr25
	s_cbranch_execz .LBB6_28
.LBB6_23:                               ;   in Loop: Header=BB6_15 Depth=1
	v_lshlrev_b64 v[22:23], 3, v[22:23]
	v_mov_b32_e32 v9, s35
	v_add_co_u32_e32 v7, vcc, s34, v22
	v_addc_co_u32_e32 v9, vcc, v9, v23, vcc
	s_and_saveexec_b64 s[48:49], s[2:3]
	s_cbranch_execz .LBB6_25
; %bb.24:                               ;   in Loop: Header=BB6_15 Depth=1
	v_add_co_u32_e32 v22, vcc, v7, v18
	v_addc_co_u32_e32 v23, vcc, v9, v19, vcc
	global_load_dwordx2 v[22:23], v[22:23], off
	s_waitcnt vmcnt(0)
	ds_write_b64 v26, v[22:23]
.LBB6_25:                               ;   in Loop: Header=BB6_15 Depth=1
	s_or_b64 exec, exec, s[48:49]
                                        ; implicit-def: $vgpr24_vgpr25
	s_and_saveexec_b64 s[48:49], s[0:1]
; %bb.26:                               ;   in Loop: Header=BB6_15 Depth=1
	v_add_co_u32_e32 v24, vcc, v7, v20
	v_addc_co_u32_e32 v25, vcc, v9, v21, vcc
	s_or_b64 s[46:47], s[46:47], exec
; %bb.27:                               ;   in Loop: Header=BB6_15 Depth=1
	s_or_b64 exec, exec, s[48:49]
.LBB6_28:                               ;   in Loop: Header=BB6_15 Depth=1
	s_and_b64 exec, exec, s[46:47]
	s_cbranch_execz .LBB6_30
; %bb.29:                               ;   in Loop: Header=BB6_15 Depth=1
	global_load_dwordx2 v[22:23], v[24:25], off
	s_waitcnt vmcnt(0)
	ds_write_b64 v26, v[22:23] offset:512
.LBB6_30:                               ;   in Loop: Header=BB6_15 Depth=1
	s_or_b64 exec, exec, s[14:15]
	s_and_saveexec_b64 s[14:15], s[36:37]
	s_cbranch_execz .LBB6_32
; %bb.31:                               ;   in Loop: Header=BB6_15 Depth=1
	s_mul_i32 s31, s7, s30
	v_add_u32_e32 v22, s31, v27
	v_ashrrev_i32_e32 v23, 31, v22
	v_lshlrev_b64 v[22:23], 3, v[22:23]
	s_waitcnt lgkmcnt(0)
	v_mov_b32_e32 v7, s23
	v_add_co_u32_e32 v22, vcc, s22, v22
	v_addc_co_u32_e32 v23, vcc, v7, v23, vcc
	global_load_dwordx2 v[22:23], v[22:23], off
	s_waitcnt vmcnt(0)
	ds_write_b64 v11, v[22:23]
.LBB6_32:                               ;   in Loop: Header=BB6_15 Depth=1
	s_or_b64 exec, exec, s[14:15]
	s_waitcnt lgkmcnt(0)
	; wave barrier
	s_waitcnt lgkmcnt(0)
	s_and_saveexec_b64 s[46:47], s[8:9]
	s_cbranch_execz .LBB6_14
; %bb.33:                               ;   in Loop: Header=BB6_15 Depth=1
	v_cndmask_b32_e64 v7, 0, 1, s[42:43]
	v_cmp_ne_u32_e64 s[14:15], 1, v7
	s_and_saveexec_b64 s[48:49], s[38:39]
	s_cbranch_execz .LBB6_41
; %bb.34:                               ;   in Loop: Header=BB6_15 Depth=1
	s_mov_b32 s31, 0
	s_and_b64 vcc, exec, s[14:15]
	s_cbranch_vccnz .LBB6_38
; %bb.35:                               ;   in Loop: Header=BB6_15 Depth=1
	v_mov_b32_e32 v7, v29
	v_mov_b32_e32 v9, v28
.LBB6_36:                               ;   Parent Loop BB6_15 Depth=1
                                        ; =>  This Inner Loop Header: Depth=2
	ds_read_b128 v[22:25], v9
	ds_read_b128 v[32:35], v9 offset:16
	ds_read_b128 v[36:39], v9 offset:32
	;; [unrolled: 1-line block ×3, first 2 shown]
	ds_read_b128 v[44:47], v7
	ds_read_b128 v[48:51], v7 offset:16
	ds_read_b128 v[52:55], v7 offset:32
	;; [unrolled: 1-line block ×3, first 2 shown]
	s_waitcnt lgkmcnt(7)
	v_mov_b32_e32 v62, v25
	s_waitcnt lgkmcnt(3)
	v_pk_fma_f32 v[12:13], v[44:45], v[22:23], v[12:13] op_sel_hi:[1,0,1]
	v_pk_fma_f32 v[12:13], v[44:45], v[22:23], v[12:13] op_sel:[1,1,0] op_sel_hi:[0,1,1] neg_lo:[1,0,0]
	v_xor_b32_e32 v60, 0x80000000, v47
	v_mov_b32_e32 v61, v46
	v_pk_fma_f32 v[12:13], v[46:47], v[24:25], v[12:13] op_sel_hi:[1,0,1]
	v_pk_fma_f32 v[12:13], v[60:61], v[62:63], v[12:13] op_sel_hi:[1,0,1]
	s_waitcnt lgkmcnt(2)
	v_pk_fma_f32 v[12:13], v[48:49], v[32:33], v[12:13] op_sel_hi:[1,0,1]
	v_pk_fma_f32 v[12:13], v[48:49], v[32:33], v[12:13] op_sel:[1,1,0] op_sel_hi:[0,1,1] neg_lo:[1,0,0]
	v_xor_b32_e32 v64, 0x80000000, v51
	v_mov_b32_e32 v65, v50
	v_mov_b32_e32 v66, v35
	v_pk_fma_f32 v[12:13], v[50:51], v[34:35], v[12:13] op_sel_hi:[1,0,1]
	v_pk_fma_f32 v[12:13], v[64:65], v[66:67], v[12:13] op_sel_hi:[1,0,1]
	s_waitcnt lgkmcnt(1)
	v_pk_fma_f32 v[12:13], v[52:53], v[36:37], v[12:13] op_sel_hi:[1,0,1]
	v_pk_fma_f32 v[12:13], v[52:53], v[36:37], v[12:13] op_sel:[1,1,0] op_sel_hi:[0,1,1] neg_lo:[1,0,0]
	v_xor_b32_e32 v68, 0x80000000, v55
	v_mov_b32_e32 v69, v54
	v_mov_b32_e32 v70, v39
	v_pk_fma_f32 v[12:13], v[54:55], v[38:39], v[12:13] op_sel_hi:[1,0,1]
	v_pk_fma_f32 v[12:13], v[68:69], v[70:71], v[12:13] op_sel_hi:[1,0,1]
	s_waitcnt lgkmcnt(0)
	v_pk_fma_f32 v[12:13], v[56:57], v[40:41], v[12:13] op_sel_hi:[1,0,1]
	v_pk_fma_f32 v[12:13], v[56:57], v[40:41], v[12:13] op_sel:[1,1,0] op_sel_hi:[0,1,1] neg_lo:[1,0,0]
	s_add_i32 s31, s31, 8
	v_xor_b32_e32 v72, 0x80000000, v59
	v_mov_b32_e32 v73, v58
	v_mov_b32_e32 v74, v43
	v_pk_fma_f32 v[12:13], v[58:59], v[42:43], v[12:13] op_sel_hi:[1,0,1]
	v_add_u32_e32 v9, 64, v9
	v_add_u32_e32 v7, 64, v7
	s_cmp_lg_u32 s52, s31
	v_pk_fma_f32 v[12:13], v[72:73], v[74:75], v[12:13] op_sel_hi:[1,0,1]
	s_cbranch_scc1 .LBB6_36
; %bb.37:                               ;   in Loop: Header=BB6_15 Depth=1
	s_mov_b32 s31, s52
.LBB6_38:                               ;   in Loop: Header=BB6_15 Depth=1
	s_andn2_b64 vcc, exec, s[44:45]
	s_cbranch_vccnz .LBB6_41
; %bb.39:                               ;   in Loop: Header=BB6_15 Depth=1
	s_lshl_b32 s31, s31, 3
	v_add_u32_e32 v7, s31, v28
	v_add_u32_e32 v9, s31, v29
	s_mov_b32 s31, s33
.LBB6_40:                               ;   Parent Loop BB6_15 Depth=1
                                        ; =>  This Inner Loop Header: Depth=2
	ds_read_b64 v[22:23], v7
	ds_read_b64 v[24:25], v9
	s_add_i32 s31, s31, -1
	v_add_u32_e32 v7, 8, v7
	v_add_u32_e32 v9, 8, v9
	s_cmp_lg_u32 s31, 0
	s_waitcnt lgkmcnt(0)
	v_pk_fma_f32 v[12:13], v[24:25], v[22:23], v[12:13] op_sel_hi:[1,0,1]
	v_pk_fma_f32 v[12:13], v[24:25], v[22:23], v[12:13] op_sel:[1,1,0] op_sel_hi:[0,1,1] neg_lo:[1,0,0]
	s_cbranch_scc1 .LBB6_40
.LBB6_41:                               ;   in Loop: Header=BB6_15 Depth=1
	s_or_b64 exec, exec, s[48:49]
	s_and_saveexec_b64 s[48:49], s[40:41]
	s_cbranch_execz .LBB6_13
; %bb.42:                               ;   in Loop: Header=BB6_15 Depth=1
	s_and_b64 vcc, exec, s[14:15]
	s_cbranch_vccnz .LBB6_46
; %bb.43:                               ;   in Loop: Header=BB6_15 Depth=1
	s_mov_b32 s14, 0
	v_mov_b32_e32 v7, v29
	v_mov_b32_e32 v9, v30
.LBB6_44:                               ;   Parent Loop BB6_15 Depth=1
                                        ; =>  This Inner Loop Header: Depth=2
	ds_read_b128 v[22:25], v9
	ds_read_b128 v[32:35], v9 offset:16
	ds_read_b128 v[36:39], v9 offset:32
	;; [unrolled: 1-line block ×3, first 2 shown]
	ds_read_b128 v[44:47], v7
	ds_read_b128 v[48:51], v7 offset:16
	ds_read_b128 v[52:55], v7 offset:32
	;; [unrolled: 1-line block ×3, first 2 shown]
	s_waitcnt lgkmcnt(7)
	v_mov_b32_e32 v62, v25
	s_waitcnt lgkmcnt(3)
	v_pk_fma_f32 v[0:1], v[44:45], v[22:23], v[0:1] op_sel_hi:[1,0,1]
	v_pk_fma_f32 v[0:1], v[44:45], v[22:23], v[0:1] op_sel:[1,1,0] op_sel_hi:[0,1,1] neg_lo:[1,0,0]
	v_xor_b32_e32 v60, 0x80000000, v47
	v_mov_b32_e32 v61, v46
	v_pk_fma_f32 v[0:1], v[46:47], v[24:25], v[0:1] op_sel_hi:[1,0,1]
	v_pk_fma_f32 v[0:1], v[60:61], v[62:63], v[0:1] op_sel_hi:[1,0,1]
	s_waitcnt lgkmcnt(2)
	v_pk_fma_f32 v[0:1], v[48:49], v[32:33], v[0:1] op_sel_hi:[1,0,1]
	v_pk_fma_f32 v[0:1], v[48:49], v[32:33], v[0:1] op_sel:[1,1,0] op_sel_hi:[0,1,1] neg_lo:[1,0,0]
	v_xor_b32_e32 v64, 0x80000000, v51
	v_mov_b32_e32 v65, v50
	v_mov_b32_e32 v66, v35
	v_pk_fma_f32 v[0:1], v[50:51], v[34:35], v[0:1] op_sel_hi:[1,0,1]
	v_pk_fma_f32 v[0:1], v[64:65], v[66:67], v[0:1] op_sel_hi:[1,0,1]
	s_waitcnt lgkmcnt(1)
	v_pk_fma_f32 v[0:1], v[52:53], v[36:37], v[0:1] op_sel_hi:[1,0,1]
	v_pk_fma_f32 v[0:1], v[52:53], v[36:37], v[0:1] op_sel:[1,1,0] op_sel_hi:[0,1,1] neg_lo:[1,0,0]
	v_xor_b32_e32 v68, 0x80000000, v55
	v_mov_b32_e32 v69, v54
	v_mov_b32_e32 v70, v39
	v_pk_fma_f32 v[0:1], v[54:55], v[38:39], v[0:1] op_sel_hi:[1,0,1]
	v_pk_fma_f32 v[0:1], v[68:69], v[70:71], v[0:1] op_sel_hi:[1,0,1]
	s_waitcnt lgkmcnt(0)
	v_pk_fma_f32 v[0:1], v[56:57], v[40:41], v[0:1] op_sel_hi:[1,0,1]
	v_pk_fma_f32 v[0:1], v[56:57], v[40:41], v[0:1] op_sel:[1,1,0] op_sel_hi:[0,1,1] neg_lo:[1,0,0]
	s_add_i32 s14, s14, 8
	v_xor_b32_e32 v72, 0x80000000, v59
	v_mov_b32_e32 v73, v58
	v_mov_b32_e32 v74, v43
	v_pk_fma_f32 v[0:1], v[58:59], v[42:43], v[0:1] op_sel_hi:[1,0,1]
	v_add_u32_e32 v9, 64, v9
	v_add_u32_e32 v7, 64, v7
	s_cmp_lg_u32 s52, s14
	v_pk_fma_f32 v[0:1], v[72:73], v[74:75], v[0:1] op_sel_hi:[1,0,1]
	s_cbranch_scc1 .LBB6_44
; %bb.45:                               ;   in Loop: Header=BB6_15 Depth=1
	s_mov_b32 s14, s52
	s_andn2_b64 vcc, exec, s[44:45]
	s_cbranch_vccz .LBB6_47
	s_branch .LBB6_13
.LBB6_46:                               ;   in Loop: Header=BB6_15 Depth=1
	s_mov_b32 s14, 0
	s_andn2_b64 vcc, exec, s[44:45]
	s_cbranch_vccnz .LBB6_13
.LBB6_47:                               ;   in Loop: Header=BB6_15 Depth=1
	s_lshl_b32 s14, s14, 3
	v_add_u32_e32 v7, s14, v30
	v_add_u32_e32 v9, s14, v29
	s_mov_b32 s14, s33
.LBB6_48:                               ;   Parent Loop BB6_15 Depth=1
                                        ; =>  This Inner Loop Header: Depth=2
	ds_read_b64 v[22:23], v7
	ds_read_b64 v[24:25], v9
	s_add_i32 s14, s14, -1
	v_add_u32_e32 v7, 8, v7
	v_add_u32_e32 v9, 8, v9
	s_cmp_lg_u32 s14, 0
	s_waitcnt lgkmcnt(0)
	v_pk_fma_f32 v[0:1], v[24:25], v[22:23], v[0:1] op_sel_hi:[1,0,1]
	v_pk_fma_f32 v[0:1], v[24:25], v[22:23], v[0:1] op_sel:[1,1,0] op_sel_hi:[0,1,1] neg_lo:[1,0,0]
	s_cbranch_scc1 .LBB6_48
	s_branch .LBB6_13
.LBB6_49:
	v_pk_mov_b32 v[4:5], s[2:3], s[2:3] op_sel:[0,1]
	flat_load_dword v3, v[4:5] offset:4
	s_and_b64 vcc, exec, s[0:1]
	s_waitcnt lgkmcnt(0)
	v_mov_b32_e32 v4, s18
	s_cbranch_vccnz .LBB6_4
.LBB6_50:
	v_pk_mov_b32 v[4:5], s[18:19], s[18:19] op_sel:[0,1]
	flat_load_dword v4, v[4:5]
	s_and_b64 vcc, exec, s[0:1]
	v_mov_b32_e32 v5, s19
	s_cbranch_vccz .LBB6_5
	s_branch .LBB6_6
.LBB6_51:
	s_and_b64 s[8:9], s[26:27], s[8:9]
	s_and_b64 exec, exec, s[8:9]
	s_cbranch_execz .LBB6_62
; %bb.52:
	s_mul_i32 s6, s6, s28
	v_add_u32_e32 v10, s6, v10
	s_load_dwordx2 s[6:7], s[4:5], 0x58
	v_and_b32_e32 v7, 0x7fffffff, v4
	v_ashrrev_i32_e32 v11, 31, v10
	v_cmp_ne_u32_e32 vcc, 0, v7
	v_cmp_neq_f32_e64 s[4:5], 0, v5
	v_lshlrev_b64 v[10:11], 3, v[10:11]
	s_or_b64 s[4:5], vcc, s[4:5]
	v_mov_b32_e32 v9, s19
	v_add_co_u32_e32 v7, vcc, s18, v10
	v_addc_co_u32_e32 v9, vcc, v9, v11, vcc
	s_and_saveexec_b64 s[8:9], s[2:3]
	s_cbranch_execz .LBB6_57
; %bb.53:
	s_and_saveexec_b64 s[2:3], s[4:5]
	s_xor_b64 s[2:3], exec, s[2:3]
	s_cbranch_execz .LBB6_55
; %bb.54:
	v_ashrrev_i32_e32 v10, 31, v8
	s_waitcnt lgkmcnt(0)
	v_mul_lo_u32 v14, v8, s7
	v_mul_lo_u32 v15, v10, s6
	v_mad_u64_u32 v[10:11], s[10:11], v8, s6, 0
	v_add3_u32 v11, v11, v14, v15
	v_lshlrev_b64 v[10:11], 3, v[10:11]
	v_add_co_u32_e32 v10, vcc, v7, v10
	v_addc_co_u32_e32 v11, vcc, v9, v11, vcc
	global_load_dwordx2 v[14:15], v[10:11], off
	v_xor_b32_e32 v16, 0x80000000, v3
	v_mov_b32_e32 v17, v2
	v_pk_mul_f32 v[16:17], v[12:13], v[16:17] op_sel:[1,0]
	v_pk_fma_f32 v[12:13], v[2:3], v[12:13], v[16:17] op_sel_hi:[1,0,1]
	v_xor_b32_e32 v18, 0x80000000, v5
	v_mov_b32_e32 v19, v4
                                        ; implicit-def: $vgpr8
	s_waitcnt vmcnt(0)
	v_pk_fma_f32 v[12:13], v[4:5], v[14:15], v[12:13] op_sel_hi:[1,0,1]
	v_pk_fma_f32 v[12:13], v[18:19], v[14:15], v[12:13] op_sel:[0,1,0]
	global_store_dwordx2 v[10:11], v[12:13], off
                                        ; implicit-def: $vgpr12_vgpr13
.LBB6_55:
	s_andn2_saveexec_b64 s[2:3], s[2:3]
	s_cbranch_execz .LBB6_57
; %bb.56:
	v_ashrrev_i32_e32 v10, 31, v8
	s_waitcnt lgkmcnt(0)
	v_mul_lo_u32 v14, v8, s7
	v_mul_lo_u32 v15, v10, s6
	v_mad_u64_u32 v[10:11], s[2:3], v8, s6, 0
	v_add3_u32 v11, v11, v14, v15
	v_lshlrev_b64 v[10:11], 3, v[10:11]
	v_xor_b32_e32 v14, 0x80000000, v3
	v_mov_b32_e32 v15, v2
	v_add_co_u32_e32 v10, vcc, v7, v10
	v_pk_mul_f32 v[14:15], v[12:13], v[14:15] op_sel:[1,0]
	v_addc_co_u32_e32 v11, vcc, v9, v11, vcc
	v_pk_fma_f32 v[12:13], v[2:3], v[12:13], v[14:15] op_sel_hi:[1,0,1]
	global_store_dwordx2 v[10:11], v[12:13], off
.LBB6_57:
	s_or_b64 exec, exec, s[8:9]
	s_and_b64 exec, exec, s[0:1]
	s_cbranch_execz .LBB6_62
; %bb.58:
	s_and_saveexec_b64 s[0:1], s[4:5]
	s_xor_b64 s[0:1], exec, s[0:1]
	s_cbranch_execz .LBB6_60
; %bb.59:
	v_ashrrev_i32_e32 v8, 31, v6
	s_waitcnt lgkmcnt(0)
	v_mul_lo_u32 v12, v6, s7
	v_mul_lo_u32 v8, v8, s6
	v_mad_u64_u32 v[10:11], s[2:3], v6, s6, 0
	v_add3_u32 v11, v11, v12, v8
	v_lshlrev_b64 v[10:11], 3, v[10:11]
	v_add_co_u32_e32 v6, vcc, v7, v10
	v_addc_co_u32_e32 v7, vcc, v9, v11, vcc
	global_load_dwordx2 v[8:9], v[6:7], off
	v_xor_b32_e32 v10, 0x80000000, v3
	v_mov_b32_e32 v11, v2
	v_pk_mul_f32 v[10:11], v[0:1], v[10:11] op_sel:[1,0]
	v_pk_fma_f32 v[0:1], v[2:3], v[0:1], v[10:11] op_sel_hi:[1,0,1]
	v_xor_b32_e32 v12, 0x80000000, v5
	v_mov_b32_e32 v13, v4
                                        ; implicit-def: $vgpr3
	s_waitcnt vmcnt(0)
	v_pk_fma_f32 v[0:1], v[4:5], v[8:9], v[0:1] op_sel_hi:[1,0,1]
	v_pk_fma_f32 v[0:1], v[12:13], v[8:9], v[0:1] op_sel:[0,1,0]
	global_store_dwordx2 v[6:7], v[0:1], off
                                        ; implicit-def: $vgpr0_vgpr1
                                        ; implicit-def: $vgpr6
                                        ; implicit-def: $vgpr7
                                        ; implicit-def: $vgpr9
.LBB6_60:
	s_andn2_saveexec_b64 s[0:1], s[0:1]
	s_cbranch_execz .LBB6_62
; %bb.61:
	v_ashrrev_i32_e32 v8, 31, v6
	s_waitcnt lgkmcnt(0)
	v_mul_lo_u32 v12, v6, s7
	v_mul_lo_u32 v8, v8, s6
	v_mad_u64_u32 v[10:11], s[0:1], v6, s6, 0
	v_add3_u32 v11, v11, v12, v8
	v_xor_b32_e32 v4, 0x80000000, v3
	v_mov_b32_e32 v5, v2
	v_lshlrev_b64 v[10:11], 3, v[10:11]
	v_pk_mul_f32 v[4:5], v[0:1], v[4:5] op_sel:[1,0]
	v_add_co_u32_e32 v6, vcc, v7, v10
	v_addc_co_u32_e32 v7, vcc, v9, v11, vcc
	v_pk_fma_f32 v[0:1], v[2:3], v[0:1], v[4:5] op_sel_hi:[1,0,1]
	global_store_dwordx2 v[6:7], v[0:1], off
.LBB6_62:
	s_endpgm
	.section	.rodata,"a",@progbits
	.p2align	6, 0x0
	.amdhsa_kernel _ZN9rocsparseL33gebsrmm_large_blockdim_kernel_extILi8ELi8ELi2E21rocsparse_complex_numIfEEEv20rocsparse_direction_20rocsparse_operation_iiNS_24const_host_device_scalarIT2_EEPKiS9_PKS6_iiSB_lS7_PS6_l21rocsparse_index_base_b
		.amdhsa_group_segment_fixed_size 1536
		.amdhsa_private_segment_fixed_size 0
		.amdhsa_kernarg_size 104
		.amdhsa_user_sgpr_count 6
		.amdhsa_user_sgpr_private_segment_buffer 1
		.amdhsa_user_sgpr_dispatch_ptr 0
		.amdhsa_user_sgpr_queue_ptr 0
		.amdhsa_user_sgpr_kernarg_segment_ptr 1
		.amdhsa_user_sgpr_dispatch_id 0
		.amdhsa_user_sgpr_flat_scratch_init 0
		.amdhsa_user_sgpr_kernarg_preload_length 0
		.amdhsa_user_sgpr_kernarg_preload_offset 0
		.amdhsa_user_sgpr_private_segment_size 0
		.amdhsa_uses_dynamic_stack 0
		.amdhsa_system_sgpr_private_segment_wavefront_offset 0
		.amdhsa_system_sgpr_workgroup_id_x 1
		.amdhsa_system_sgpr_workgroup_id_y 1
		.amdhsa_system_sgpr_workgroup_id_z 0
		.amdhsa_system_sgpr_workgroup_info 0
		.amdhsa_system_vgpr_workitem_id 1
		.amdhsa_next_free_vgpr 76
		.amdhsa_next_free_sgpr 53
		.amdhsa_accum_offset 76
		.amdhsa_reserve_vcc 1
		.amdhsa_reserve_flat_scratch 0
		.amdhsa_float_round_mode_32 0
		.amdhsa_float_round_mode_16_64 0
		.amdhsa_float_denorm_mode_32 3
		.amdhsa_float_denorm_mode_16_64 3
		.amdhsa_dx10_clamp 1
		.amdhsa_ieee_mode 1
		.amdhsa_fp16_overflow 0
		.amdhsa_tg_split 0
		.amdhsa_exception_fp_ieee_invalid_op 0
		.amdhsa_exception_fp_denorm_src 0
		.amdhsa_exception_fp_ieee_div_zero 0
		.amdhsa_exception_fp_ieee_overflow 0
		.amdhsa_exception_fp_ieee_underflow 0
		.amdhsa_exception_fp_ieee_inexact 0
		.amdhsa_exception_int_div_zero 0
	.end_amdhsa_kernel
	.section	.text._ZN9rocsparseL33gebsrmm_large_blockdim_kernel_extILi8ELi8ELi2E21rocsparse_complex_numIfEEEv20rocsparse_direction_20rocsparse_operation_iiNS_24const_host_device_scalarIT2_EEPKiS9_PKS6_iiSB_lS7_PS6_l21rocsparse_index_base_b,"axG",@progbits,_ZN9rocsparseL33gebsrmm_large_blockdim_kernel_extILi8ELi8ELi2E21rocsparse_complex_numIfEEEv20rocsparse_direction_20rocsparse_operation_iiNS_24const_host_device_scalarIT2_EEPKiS9_PKS6_iiSB_lS7_PS6_l21rocsparse_index_base_b,comdat
.Lfunc_end6:
	.size	_ZN9rocsparseL33gebsrmm_large_blockdim_kernel_extILi8ELi8ELi2E21rocsparse_complex_numIfEEEv20rocsparse_direction_20rocsparse_operation_iiNS_24const_host_device_scalarIT2_EEPKiS9_PKS6_iiSB_lS7_PS6_l21rocsparse_index_base_b, .Lfunc_end6-_ZN9rocsparseL33gebsrmm_large_blockdim_kernel_extILi8ELi8ELi2E21rocsparse_complex_numIfEEEv20rocsparse_direction_20rocsparse_operation_iiNS_24const_host_device_scalarIT2_EEPKiS9_PKS6_iiSB_lS7_PS6_l21rocsparse_index_base_b
                                        ; -- End function
	.section	.AMDGPU.csdata,"",@progbits
; Kernel info:
; codeLenInByte = 2676
; NumSgprs: 57
; NumVgprs: 76
; NumAgprs: 0
; TotalNumVgprs: 76
; ScratchSize: 0
; MemoryBound: 0
; FloatMode: 240
; IeeeMode: 1
; LDSByteSize: 1536 bytes/workgroup (compile time only)
; SGPRBlocks: 7
; VGPRBlocks: 9
; NumSGPRsForWavesPerEU: 57
; NumVGPRsForWavesPerEU: 76
; AccumOffset: 76
; Occupancy: 6
; WaveLimiterHint : 1
; COMPUTE_PGM_RSRC2:SCRATCH_EN: 0
; COMPUTE_PGM_RSRC2:USER_SGPR: 6
; COMPUTE_PGM_RSRC2:TRAP_HANDLER: 0
; COMPUTE_PGM_RSRC2:TGID_X_EN: 1
; COMPUTE_PGM_RSRC2:TGID_Y_EN: 1
; COMPUTE_PGM_RSRC2:TGID_Z_EN: 0
; COMPUTE_PGM_RSRC2:TIDIG_COMP_CNT: 1
; COMPUTE_PGM_RSRC3_GFX90A:ACCUM_OFFSET: 18
; COMPUTE_PGM_RSRC3_GFX90A:TG_SPLIT: 0
	.section	.text._ZN9rocsparseL33gebsrmm_large_blockdim_kernel_extILi16ELi16ELi2E21rocsparse_complex_numIfEEEv20rocsparse_direction_20rocsparse_operation_iiNS_24const_host_device_scalarIT2_EEPKiS9_PKS6_iiSB_lS7_PS6_l21rocsparse_index_base_b,"axG",@progbits,_ZN9rocsparseL33gebsrmm_large_blockdim_kernel_extILi16ELi16ELi2E21rocsparse_complex_numIfEEEv20rocsparse_direction_20rocsparse_operation_iiNS_24const_host_device_scalarIT2_EEPKiS9_PKS6_iiSB_lS7_PS6_l21rocsparse_index_base_b,comdat
	.globl	_ZN9rocsparseL33gebsrmm_large_blockdim_kernel_extILi16ELi16ELi2E21rocsparse_complex_numIfEEEv20rocsparse_direction_20rocsparse_operation_iiNS_24const_host_device_scalarIT2_EEPKiS9_PKS6_iiSB_lS7_PS6_l21rocsparse_index_base_b ; -- Begin function _ZN9rocsparseL33gebsrmm_large_blockdim_kernel_extILi16ELi16ELi2E21rocsparse_complex_numIfEEEv20rocsparse_direction_20rocsparse_operation_iiNS_24const_host_device_scalarIT2_EEPKiS9_PKS6_iiSB_lS7_PS6_l21rocsparse_index_base_b
	.p2align	8
	.type	_ZN9rocsparseL33gebsrmm_large_blockdim_kernel_extILi16ELi16ELi2E21rocsparse_complex_numIfEEEv20rocsparse_direction_20rocsparse_operation_iiNS_24const_host_device_scalarIT2_EEPKiS9_PKS6_iiSB_lS7_PS6_l21rocsparse_index_base_b,@function
_ZN9rocsparseL33gebsrmm_large_blockdim_kernel_extILi16ELi16ELi2E21rocsparse_complex_numIfEEEv20rocsparse_direction_20rocsparse_operation_iiNS_24const_host_device_scalarIT2_EEPKiS9_PKS6_iiSB_lS7_PS6_l21rocsparse_index_base_b: ; @_ZN9rocsparseL33gebsrmm_large_blockdim_kernel_extILi16ELi16ELi2E21rocsparse_complex_numIfEEEv20rocsparse_direction_20rocsparse_operation_iiNS_24const_host_device_scalarIT2_EEPKiS9_PKS6_iiSB_lS7_PS6_l21rocsparse_index_base_b
; %bb.0:
	s_load_dwordx2 s[24:25], s[4:5], 0x60
	s_load_dwordx2 s[2:3], s[4:5], 0x10
	s_waitcnt lgkmcnt(0)
	s_bitcmp1_b32 s25, 0
	s_cselect_b64 s[0:1], -1, 0
	s_xor_b64 s[8:9], s[0:1], -1
	s_and_b64 vcc, exec, s[0:1]
	v_mov_b32_e32 v2, s2
	s_cbranch_vccnz .LBB7_2
; %bb.1:
	v_pk_mov_b32 v[2:3], s[2:3], s[2:3] op_sel:[0,1]
	flat_load_dword v2, v[2:3]
.LBB7_2:
	s_load_dwordx4 s[16:19], s[4:5], 0x40
	v_cndmask_b32_e64 v1, 0, 1, s[8:9]
	v_cmp_ne_u32_e64 s[0:1], 1, v1
	s_andn2_b64 vcc, exec, s[8:9]
	v_mov_b32_e32 v3, s3
	s_cbranch_vccz .LBB7_49
; %bb.3:
	s_and_b64 vcc, exec, s[0:1]
	s_waitcnt lgkmcnt(0)
	v_mov_b32_e32 v4, s18
	s_cbranch_vccz .LBB7_50
.LBB7_4:
	s_and_b64 vcc, exec, s[0:1]
	v_mov_b32_e32 v5, s19
	s_cbranch_vccnz .LBB7_6
.LBB7_5:
	v_pk_mov_b32 v[6:7], s[18:19], s[18:19] op_sel:[0,1]
	flat_load_dword v5, v[6:7] offset:4
.LBB7_6:
	s_waitcnt vmcnt(0)
	v_and_b32_e32 v1, 0x7fffffff, v2
	v_cmp_eq_u32_e32 vcc, 0, v1
	v_cmp_eq_f32_e64 s[0:1], 0, v3
	s_and_b64 s[8:9], vcc, s[0:1]
	s_mov_b64 s[0:1], -1
	s_and_saveexec_b64 s[2:3], s[8:9]
	s_cbranch_execz .LBB7_8
; %bb.7:
	s_waitcnt lgkmcnt(0)
	v_and_b32_e32 v1, 0x7fffffff, v5
	v_cmp_neq_f32_e32 vcc, 1.0, v4
	v_cmp_ne_u32_e64 s[0:1], 0, v1
	s_or_b64 s[0:1], vcc, s[0:1]
	s_orn2_b64 s[0:1], s[0:1], exec
.LBB7_8:
	s_or_b64 exec, exec, s[2:3]
	s_and_saveexec_b64 s[2:3], s[0:1]
	s_cbranch_execz .LBB7_62
; %bb.9:
	s_load_dwordx4 s[12:15], s[4:5], 0x0
	s_mov_b32 s10, 0
	s_mov_b32 s30, 0
	;; [unrolled: 1-line block ×3, first 2 shown]
	s_waitcnt lgkmcnt(0)
	s_cmp_lt_i32 s6, s14
	s_cselect_b64 s[26:27], -1, 0
	s_cmp_ge_i32 s6, s14
	s_cbranch_scc1 .LBB7_11
; %bb.10:
	s_load_dwordx2 s[2:3], s[4:5], 0x18
	s_mov_b32 s0, s7
	s_ashr_i32 s7, s6, 31
	s_lshl_b64 s[8:9], s[6:7], 2
	s_mov_b32 s7, s0
	s_waitcnt lgkmcnt(0)
	s_add_u32 s0, s2, s8
	s_addc_u32 s1, s3, s9
	s_load_dwordx2 s[0:1], s[0:1], 0x0
	s_waitcnt lgkmcnt(0)
	s_sub_i32 s30, s0, s24
	s_sub_i32 s25, s1, s24
.LBB7_11:
	s_load_dwordx2 s[18:19], s[4:5], 0x50
	s_load_dwordx2 s[28:29], s[4:5], 0x30
	v_bfe_u32 v14, v0, 10, 10
	v_lshl_add_u32 v8, s7, 5, v14
	v_add_u32_e32 v6, 16, v8
	v_and_b32_e32 v10, 0x3ff, v0
	s_mov_b32 s11, s10
	v_cmp_gt_i32_e64 s[2:3], s15, v8
	v_cmp_gt_i32_e64 s[0:1], s15, v6
	s_waitcnt lgkmcnt(0)
	v_cmp_gt_i32_e64 s[8:9], s28, v10
	s_cmp_ge_i32 s30, s25
	v_pk_mov_b32 v[0:1], s[10:11], s[10:11] op_sel:[0,1]
	v_pk_mov_b32 v[12:13], s[10:11], s[10:11] op_sel:[0,1]
	s_cbranch_scc1 .LBB7_51
; %bb.12:
	v_cmp_gt_i32_e32 vcc, s29, v14
	s_and_b64 s[36:37], s[8:9], vcc
	s_cmpk_lg_i32 s13, 0x6f
	s_cselect_b64 s[14:15], -1, 0
	s_cmp_eq_u32 s12, 0
	v_mov_b32_e32 v15, 0x1000
	v_mad_u64_u32 v[0:1], s[12:13], v14, s28, v[10:11]
	v_mad_u64_u32 v[12:13], s[12:13], v10, s29, v[14:15]
	s_cselect_b64 vcc, -1, 0
	s_cmp_gt_i32 s29, 0
	s_cselect_b64 s[12:13], -1, 0
	v_mad_u64_u32 v[18:19], s[38:39], v8, s16, 0
	v_mad_u64_u32 v[20:21], s[38:39], v6, s16, 0
	s_load_dwordx4 s[20:23], s[4:5], 0x20
	s_load_dwordx2 s[34:35], s[4:5], 0x38
	v_lshlrev_b32_e32 v7, 4, v14
	v_lshl_add_u32 v1, v10, 4, v14
	v_ashrrev_i32_e32 v9, 31, v8
	s_and_b64 s[38:39], s[2:3], s[12:13]
	s_and_b64 s[40:41], s[0:1], s[12:13]
	s_and_b32 s33, s29, 7
	v_lshl_add_u32 v11, v1, 3, v15
	v_add_lshl_u32 v26, v7, v10, 3
	v_ashrrev_i32_e32 v7, 31, v6
	v_mul_lo_u32 v1, v8, s17
	v_mul_lo_u32 v13, v9, s16
	s_cmp_gt_u32 s29, 7
	s_mov_b32 s46, 0
	v_add3_u32 v19, v19, v1, v13
	v_mul_lo_u32 v1, v6, s17
	v_mul_lo_u32 v13, v7, s16
	s_cselect_b64 s[42:43], -1, 0
	s_and_b32 s52, s29, 0x7ffffff8
	v_add3_u32 v21, v21, v1, v13
	v_cndmask_b32_e32 v27, v0, v12, vcc
	s_cmp_lg_u32 s33, 0
	v_lshlrev_b32_e32 v28, 7, v14
	s_mov_b32 s47, s46
	v_cndmask_b32_e64 v0, 0, 1, s[14:15]
	s_mul_i32 s7, s29, s28
	v_cmp_gt_i32_e64 s[10:11], s29, v10
	s_cselect_b64 s[44:45], -1, 0
	v_lshl_add_u32 v29, v10, 7, v15
	v_add_u32_e32 v30, 0x800, v28
	v_pk_mov_b32 v[12:13], s[46:47], s[46:47] op_sel:[0,1]
	v_cmp_ne_u32_e64 s[12:13], 1, v0
	v_lshlrev_b64 v[14:15], 3, v[8:9]
	v_lshlrev_b64 v[16:17], 3, v[6:7]
	;; [unrolled: 1-line block ×4, first 2 shown]
	v_pk_mov_b32 v[0:1], s[46:47], s[46:47] op_sel:[0,1]
	s_branch .LBB7_15
.LBB7_13:                               ;   in Loop: Header=BB7_15 Depth=1
	s_or_b64 exec, exec, s[48:49]
.LBB7_14:                               ;   in Loop: Header=BB7_15 Depth=1
	s_or_b64 exec, exec, s[46:47]
	s_add_i32 s30, s30, 1
	s_cmp_ge_i32 s30, s25
	s_barrier
	s_cbranch_scc1 .LBB7_51
.LBB7_15:                               ; =>This Loop Header: Depth=1
                                        ;     Child Loop BB7_36 Depth 2
                                        ;     Child Loop BB7_40 Depth 2
	;; [unrolled: 1-line block ×4, first 2 shown]
	s_and_saveexec_b64 s[14:15], s[10:11]
	s_cbranch_execz .LBB7_30
; %bb.16:                               ;   in Loop: Header=BB7_15 Depth=1
	s_ashr_i32 s31, s30, 31
	s_lshl_b64 s[46:47], s[30:31], 2
	s_waitcnt lgkmcnt(0)
	s_add_u32 s46, s20, s46
	s_addc_u32 s47, s21, s47
	s_load_dword s31, s[46:47], 0x0
	s_and_b64 vcc, exec, s[12:13]
	s_waitcnt lgkmcnt(0)
	s_sub_i32 s31, s31, s24
	s_mul_i32 s31, s31, s29
	v_add_u32_e32 v22, s31, v10
	v_ashrrev_i32_e32 v23, 31, v22
	s_cbranch_vccnz .LBB7_22
; %bb.17:                               ;   in Loop: Header=BB7_15 Depth=1
	v_mul_lo_u32 v7, v23, s16
	v_mul_lo_u32 v9, v22, s17
	v_mad_u64_u32 v[24:25], s[46:47], v22, s16, 0
	v_add3_u32 v25, v25, v9, v7
	v_lshlrev_b64 v[24:25], 3, v[24:25]
	v_mov_b32_e32 v9, s35
	v_add_co_u32_e32 v7, vcc, s34, v24
	v_addc_co_u32_e32 v9, vcc, v9, v25, vcc
	s_and_saveexec_b64 s[46:47], s[2:3]
	s_cbranch_execz .LBB7_19
; %bb.18:                               ;   in Loop: Header=BB7_15 Depth=1
	v_add_co_u32_e32 v24, vcc, v7, v14
	v_addc_co_u32_e32 v25, vcc, v9, v15, vcc
	global_load_dwordx2 v[24:25], v[24:25], off
	s_waitcnt vmcnt(0)
	ds_write_b64 v26, v[24:25]
.LBB7_19:                               ;   in Loop: Header=BB7_15 Depth=1
	s_or_b64 exec, exec, s[46:47]
	s_mov_b64 s[48:49], 0
	s_mov_b64 s[46:47], 0
                                        ; implicit-def: $vgpr24_vgpr25
	s_and_saveexec_b64 s[50:51], s[0:1]
	s_xor_b64 s[50:51], exec, s[50:51]
; %bb.20:                               ;   in Loop: Header=BB7_15 Depth=1
	v_add_co_u32_e32 v24, vcc, v7, v16
	s_mov_b64 s[46:47], exec
	v_addc_co_u32_e32 v25, vcc, v9, v17, vcc
; %bb.21:                               ;   in Loop: Header=BB7_15 Depth=1
	s_or_b64 exec, exec, s[50:51]
	s_and_b64 vcc, exec, s[48:49]
	s_cbranch_vccnz .LBB7_23
	s_branch .LBB7_28
.LBB7_22:                               ;   in Loop: Header=BB7_15 Depth=1
	s_mov_b64 s[46:47], 0
                                        ; implicit-def: $vgpr24_vgpr25
	s_cbranch_execz .LBB7_28
.LBB7_23:                               ;   in Loop: Header=BB7_15 Depth=1
	v_lshlrev_b64 v[22:23], 3, v[22:23]
	v_mov_b32_e32 v9, s35
	v_add_co_u32_e32 v7, vcc, s34, v22
	v_addc_co_u32_e32 v9, vcc, v9, v23, vcc
	s_and_saveexec_b64 s[48:49], s[2:3]
	s_cbranch_execz .LBB7_25
; %bb.24:                               ;   in Loop: Header=BB7_15 Depth=1
	v_add_co_u32_e32 v22, vcc, v7, v18
	v_addc_co_u32_e32 v23, vcc, v9, v19, vcc
	global_load_dwordx2 v[22:23], v[22:23], off
	s_waitcnt vmcnt(0)
	ds_write_b64 v26, v[22:23]
.LBB7_25:                               ;   in Loop: Header=BB7_15 Depth=1
	s_or_b64 exec, exec, s[48:49]
                                        ; implicit-def: $vgpr24_vgpr25
	s_and_saveexec_b64 s[48:49], s[0:1]
; %bb.26:                               ;   in Loop: Header=BB7_15 Depth=1
	v_add_co_u32_e32 v24, vcc, v7, v20
	v_addc_co_u32_e32 v25, vcc, v9, v21, vcc
	s_or_b64 s[46:47], s[46:47], exec
; %bb.27:                               ;   in Loop: Header=BB7_15 Depth=1
	s_or_b64 exec, exec, s[48:49]
.LBB7_28:                               ;   in Loop: Header=BB7_15 Depth=1
	s_and_b64 exec, exec, s[46:47]
	s_cbranch_execz .LBB7_30
; %bb.29:                               ;   in Loop: Header=BB7_15 Depth=1
	global_load_dwordx2 v[22:23], v[24:25], off
	s_waitcnt vmcnt(0)
	ds_write_b64 v26, v[22:23] offset:2048
.LBB7_30:                               ;   in Loop: Header=BB7_15 Depth=1
	s_or_b64 exec, exec, s[14:15]
	s_and_saveexec_b64 s[14:15], s[36:37]
	s_cbranch_execz .LBB7_32
; %bb.31:                               ;   in Loop: Header=BB7_15 Depth=1
	s_mul_i32 s31, s7, s30
	v_add_u32_e32 v22, s31, v27
	v_ashrrev_i32_e32 v23, 31, v22
	v_lshlrev_b64 v[22:23], 3, v[22:23]
	s_waitcnt lgkmcnt(0)
	v_mov_b32_e32 v7, s23
	v_add_co_u32_e32 v22, vcc, s22, v22
	v_addc_co_u32_e32 v23, vcc, v7, v23, vcc
	global_load_dwordx2 v[22:23], v[22:23], off
	s_waitcnt vmcnt(0)
	ds_write_b64 v11, v[22:23]
.LBB7_32:                               ;   in Loop: Header=BB7_15 Depth=1
	s_or_b64 exec, exec, s[14:15]
	s_waitcnt lgkmcnt(0)
	s_barrier
	s_and_saveexec_b64 s[46:47], s[8:9]
	s_cbranch_execz .LBB7_14
; %bb.33:                               ;   in Loop: Header=BB7_15 Depth=1
	v_cndmask_b32_e64 v7, 0, 1, s[42:43]
	v_cmp_ne_u32_e64 s[14:15], 1, v7
	s_and_saveexec_b64 s[48:49], s[38:39]
	s_cbranch_execz .LBB7_41
; %bb.34:                               ;   in Loop: Header=BB7_15 Depth=1
	s_mov_b32 s31, 0
	s_and_b64 vcc, exec, s[14:15]
	s_cbranch_vccnz .LBB7_38
; %bb.35:                               ;   in Loop: Header=BB7_15 Depth=1
	v_mov_b32_e32 v7, v29
	v_mov_b32_e32 v9, v28
.LBB7_36:                               ;   Parent Loop BB7_15 Depth=1
                                        ; =>  This Inner Loop Header: Depth=2
	ds_read_b128 v[22:25], v9
	ds_read_b128 v[32:35], v9 offset:16
	ds_read_b128 v[36:39], v9 offset:32
	;; [unrolled: 1-line block ×3, first 2 shown]
	ds_read_b128 v[44:47], v7
	ds_read_b128 v[48:51], v7 offset:16
	ds_read_b128 v[52:55], v7 offset:32
	;; [unrolled: 1-line block ×3, first 2 shown]
	s_waitcnt lgkmcnt(7)
	v_mov_b32_e32 v62, v25
	s_waitcnt lgkmcnt(3)
	v_pk_fma_f32 v[12:13], v[44:45], v[22:23], v[12:13] op_sel_hi:[1,0,1]
	v_pk_fma_f32 v[12:13], v[44:45], v[22:23], v[12:13] op_sel:[1,1,0] op_sel_hi:[0,1,1] neg_lo:[1,0,0]
	v_xor_b32_e32 v60, 0x80000000, v47
	v_mov_b32_e32 v61, v46
	v_pk_fma_f32 v[12:13], v[46:47], v[24:25], v[12:13] op_sel_hi:[1,0,1]
	v_pk_fma_f32 v[12:13], v[60:61], v[62:63], v[12:13] op_sel_hi:[1,0,1]
	s_waitcnt lgkmcnt(2)
	v_pk_fma_f32 v[12:13], v[48:49], v[32:33], v[12:13] op_sel_hi:[1,0,1]
	v_pk_fma_f32 v[12:13], v[48:49], v[32:33], v[12:13] op_sel:[1,1,0] op_sel_hi:[0,1,1] neg_lo:[1,0,0]
	v_xor_b32_e32 v64, 0x80000000, v51
	v_mov_b32_e32 v65, v50
	v_mov_b32_e32 v66, v35
	v_pk_fma_f32 v[12:13], v[50:51], v[34:35], v[12:13] op_sel_hi:[1,0,1]
	v_pk_fma_f32 v[12:13], v[64:65], v[66:67], v[12:13] op_sel_hi:[1,0,1]
	s_waitcnt lgkmcnt(1)
	v_pk_fma_f32 v[12:13], v[52:53], v[36:37], v[12:13] op_sel_hi:[1,0,1]
	v_pk_fma_f32 v[12:13], v[52:53], v[36:37], v[12:13] op_sel:[1,1,0] op_sel_hi:[0,1,1] neg_lo:[1,0,0]
	v_xor_b32_e32 v68, 0x80000000, v55
	v_mov_b32_e32 v69, v54
	v_mov_b32_e32 v70, v39
	v_pk_fma_f32 v[12:13], v[54:55], v[38:39], v[12:13] op_sel_hi:[1,0,1]
	v_pk_fma_f32 v[12:13], v[68:69], v[70:71], v[12:13] op_sel_hi:[1,0,1]
	s_waitcnt lgkmcnt(0)
	v_pk_fma_f32 v[12:13], v[56:57], v[40:41], v[12:13] op_sel_hi:[1,0,1]
	v_pk_fma_f32 v[12:13], v[56:57], v[40:41], v[12:13] op_sel:[1,1,0] op_sel_hi:[0,1,1] neg_lo:[1,0,0]
	s_add_i32 s31, s31, 8
	v_xor_b32_e32 v72, 0x80000000, v59
	v_mov_b32_e32 v73, v58
	v_mov_b32_e32 v74, v43
	v_pk_fma_f32 v[12:13], v[58:59], v[42:43], v[12:13] op_sel_hi:[1,0,1]
	v_add_u32_e32 v9, 64, v9
	v_add_u32_e32 v7, 64, v7
	s_cmp_lg_u32 s52, s31
	v_pk_fma_f32 v[12:13], v[72:73], v[74:75], v[12:13] op_sel_hi:[1,0,1]
	s_cbranch_scc1 .LBB7_36
; %bb.37:                               ;   in Loop: Header=BB7_15 Depth=1
	s_mov_b32 s31, s52
.LBB7_38:                               ;   in Loop: Header=BB7_15 Depth=1
	s_andn2_b64 vcc, exec, s[44:45]
	s_cbranch_vccnz .LBB7_41
; %bb.39:                               ;   in Loop: Header=BB7_15 Depth=1
	s_lshl_b32 s31, s31, 3
	v_add_u32_e32 v7, s31, v28
	v_add_u32_e32 v9, s31, v29
	s_mov_b32 s31, s33
.LBB7_40:                               ;   Parent Loop BB7_15 Depth=1
                                        ; =>  This Inner Loop Header: Depth=2
	ds_read_b64 v[22:23], v7
	ds_read_b64 v[24:25], v9
	s_add_i32 s31, s31, -1
	v_add_u32_e32 v7, 8, v7
	v_add_u32_e32 v9, 8, v9
	s_cmp_lg_u32 s31, 0
	s_waitcnt lgkmcnt(0)
	v_pk_fma_f32 v[12:13], v[24:25], v[22:23], v[12:13] op_sel_hi:[1,0,1]
	v_pk_fma_f32 v[12:13], v[24:25], v[22:23], v[12:13] op_sel:[1,1,0] op_sel_hi:[0,1,1] neg_lo:[1,0,0]
	s_cbranch_scc1 .LBB7_40
.LBB7_41:                               ;   in Loop: Header=BB7_15 Depth=1
	s_or_b64 exec, exec, s[48:49]
	s_and_saveexec_b64 s[48:49], s[40:41]
	s_cbranch_execz .LBB7_13
; %bb.42:                               ;   in Loop: Header=BB7_15 Depth=1
	s_and_b64 vcc, exec, s[14:15]
	s_cbranch_vccnz .LBB7_46
; %bb.43:                               ;   in Loop: Header=BB7_15 Depth=1
	s_mov_b32 s14, 0
	v_mov_b32_e32 v7, v29
	v_mov_b32_e32 v9, v30
.LBB7_44:                               ;   Parent Loop BB7_15 Depth=1
                                        ; =>  This Inner Loop Header: Depth=2
	ds_read_b128 v[22:25], v9
	ds_read_b128 v[32:35], v9 offset:16
	ds_read_b128 v[36:39], v9 offset:32
	;; [unrolled: 1-line block ×3, first 2 shown]
	ds_read_b128 v[44:47], v7
	ds_read_b128 v[48:51], v7 offset:16
	ds_read_b128 v[52:55], v7 offset:32
	ds_read_b128 v[56:59], v7 offset:48
	s_waitcnt lgkmcnt(7)
	v_mov_b32_e32 v62, v25
	s_waitcnt lgkmcnt(3)
	v_pk_fma_f32 v[0:1], v[44:45], v[22:23], v[0:1] op_sel_hi:[1,0,1]
	v_pk_fma_f32 v[0:1], v[44:45], v[22:23], v[0:1] op_sel:[1,1,0] op_sel_hi:[0,1,1] neg_lo:[1,0,0]
	v_xor_b32_e32 v60, 0x80000000, v47
	v_mov_b32_e32 v61, v46
	v_pk_fma_f32 v[0:1], v[46:47], v[24:25], v[0:1] op_sel_hi:[1,0,1]
	v_pk_fma_f32 v[0:1], v[60:61], v[62:63], v[0:1] op_sel_hi:[1,0,1]
	s_waitcnt lgkmcnt(2)
	v_pk_fma_f32 v[0:1], v[48:49], v[32:33], v[0:1] op_sel_hi:[1,0,1]
	v_pk_fma_f32 v[0:1], v[48:49], v[32:33], v[0:1] op_sel:[1,1,0] op_sel_hi:[0,1,1] neg_lo:[1,0,0]
	v_xor_b32_e32 v64, 0x80000000, v51
	v_mov_b32_e32 v65, v50
	v_mov_b32_e32 v66, v35
	v_pk_fma_f32 v[0:1], v[50:51], v[34:35], v[0:1] op_sel_hi:[1,0,1]
	v_pk_fma_f32 v[0:1], v[64:65], v[66:67], v[0:1] op_sel_hi:[1,0,1]
	s_waitcnt lgkmcnt(1)
	v_pk_fma_f32 v[0:1], v[52:53], v[36:37], v[0:1] op_sel_hi:[1,0,1]
	v_pk_fma_f32 v[0:1], v[52:53], v[36:37], v[0:1] op_sel:[1,1,0] op_sel_hi:[0,1,1] neg_lo:[1,0,0]
	v_xor_b32_e32 v68, 0x80000000, v55
	v_mov_b32_e32 v69, v54
	v_mov_b32_e32 v70, v39
	v_pk_fma_f32 v[0:1], v[54:55], v[38:39], v[0:1] op_sel_hi:[1,0,1]
	v_pk_fma_f32 v[0:1], v[68:69], v[70:71], v[0:1] op_sel_hi:[1,0,1]
	s_waitcnt lgkmcnt(0)
	v_pk_fma_f32 v[0:1], v[56:57], v[40:41], v[0:1] op_sel_hi:[1,0,1]
	v_pk_fma_f32 v[0:1], v[56:57], v[40:41], v[0:1] op_sel:[1,1,0] op_sel_hi:[0,1,1] neg_lo:[1,0,0]
	s_add_i32 s14, s14, 8
	v_xor_b32_e32 v72, 0x80000000, v59
	v_mov_b32_e32 v73, v58
	v_mov_b32_e32 v74, v43
	v_pk_fma_f32 v[0:1], v[58:59], v[42:43], v[0:1] op_sel_hi:[1,0,1]
	v_add_u32_e32 v9, 64, v9
	v_add_u32_e32 v7, 64, v7
	s_cmp_lg_u32 s52, s14
	v_pk_fma_f32 v[0:1], v[72:73], v[74:75], v[0:1] op_sel_hi:[1,0,1]
	s_cbranch_scc1 .LBB7_44
; %bb.45:                               ;   in Loop: Header=BB7_15 Depth=1
	s_mov_b32 s14, s52
	s_andn2_b64 vcc, exec, s[44:45]
	s_cbranch_vccz .LBB7_47
	s_branch .LBB7_13
.LBB7_46:                               ;   in Loop: Header=BB7_15 Depth=1
	s_mov_b32 s14, 0
	s_andn2_b64 vcc, exec, s[44:45]
	s_cbranch_vccnz .LBB7_13
.LBB7_47:                               ;   in Loop: Header=BB7_15 Depth=1
	s_lshl_b32 s14, s14, 3
	v_add_u32_e32 v7, s14, v30
	v_add_u32_e32 v9, s14, v29
	s_mov_b32 s14, s33
.LBB7_48:                               ;   Parent Loop BB7_15 Depth=1
                                        ; =>  This Inner Loop Header: Depth=2
	ds_read_b64 v[22:23], v7
	ds_read_b64 v[24:25], v9
	s_add_i32 s14, s14, -1
	v_add_u32_e32 v7, 8, v7
	v_add_u32_e32 v9, 8, v9
	s_cmp_lg_u32 s14, 0
	s_waitcnt lgkmcnt(0)
	v_pk_fma_f32 v[0:1], v[24:25], v[22:23], v[0:1] op_sel_hi:[1,0,1]
	v_pk_fma_f32 v[0:1], v[24:25], v[22:23], v[0:1] op_sel:[1,1,0] op_sel_hi:[0,1,1] neg_lo:[1,0,0]
	s_cbranch_scc1 .LBB7_48
	s_branch .LBB7_13
.LBB7_49:
	v_pk_mov_b32 v[4:5], s[2:3], s[2:3] op_sel:[0,1]
	flat_load_dword v3, v[4:5] offset:4
	s_and_b64 vcc, exec, s[0:1]
	s_waitcnt lgkmcnt(0)
	v_mov_b32_e32 v4, s18
	s_cbranch_vccnz .LBB7_4
.LBB7_50:
	v_pk_mov_b32 v[4:5], s[18:19], s[18:19] op_sel:[0,1]
	flat_load_dword v4, v[4:5]
	s_and_b64 vcc, exec, s[0:1]
	v_mov_b32_e32 v5, s19
	s_cbranch_vccz .LBB7_5
	s_branch .LBB7_6
.LBB7_51:
	s_and_b64 s[8:9], s[26:27], s[8:9]
	s_and_b64 exec, exec, s[8:9]
	s_cbranch_execz .LBB7_62
; %bb.52:
	s_mul_i32 s6, s6, s28
	v_add_u32_e32 v10, s6, v10
	s_load_dwordx2 s[6:7], s[4:5], 0x58
	v_and_b32_e32 v7, 0x7fffffff, v4
	v_ashrrev_i32_e32 v11, 31, v10
	v_cmp_ne_u32_e32 vcc, 0, v7
	v_cmp_neq_f32_e64 s[4:5], 0, v5
	v_lshlrev_b64 v[10:11], 3, v[10:11]
	s_or_b64 s[4:5], vcc, s[4:5]
	v_mov_b32_e32 v9, s19
	v_add_co_u32_e32 v7, vcc, s18, v10
	v_addc_co_u32_e32 v9, vcc, v9, v11, vcc
	s_and_saveexec_b64 s[8:9], s[2:3]
	s_cbranch_execz .LBB7_57
; %bb.53:
	s_and_saveexec_b64 s[2:3], s[4:5]
	s_xor_b64 s[2:3], exec, s[2:3]
	s_cbranch_execz .LBB7_55
; %bb.54:
	v_ashrrev_i32_e32 v10, 31, v8
	s_waitcnt lgkmcnt(0)
	v_mul_lo_u32 v14, v8, s7
	v_mul_lo_u32 v15, v10, s6
	v_mad_u64_u32 v[10:11], s[10:11], v8, s6, 0
	v_add3_u32 v11, v11, v14, v15
	v_lshlrev_b64 v[10:11], 3, v[10:11]
	v_add_co_u32_e32 v10, vcc, v7, v10
	v_addc_co_u32_e32 v11, vcc, v9, v11, vcc
	global_load_dwordx2 v[14:15], v[10:11], off
	v_xor_b32_e32 v16, 0x80000000, v3
	v_mov_b32_e32 v17, v2
	v_pk_mul_f32 v[16:17], v[12:13], v[16:17] op_sel:[1,0]
	v_pk_fma_f32 v[12:13], v[2:3], v[12:13], v[16:17] op_sel_hi:[1,0,1]
	v_xor_b32_e32 v18, 0x80000000, v5
	v_mov_b32_e32 v19, v4
                                        ; implicit-def: $vgpr8
	s_waitcnt vmcnt(0)
	v_pk_fma_f32 v[12:13], v[4:5], v[14:15], v[12:13] op_sel_hi:[1,0,1]
	v_pk_fma_f32 v[12:13], v[18:19], v[14:15], v[12:13] op_sel:[0,1,0]
	global_store_dwordx2 v[10:11], v[12:13], off
                                        ; implicit-def: $vgpr12_vgpr13
.LBB7_55:
	s_andn2_saveexec_b64 s[2:3], s[2:3]
	s_cbranch_execz .LBB7_57
; %bb.56:
	v_ashrrev_i32_e32 v10, 31, v8
	s_waitcnt lgkmcnt(0)
	v_mul_lo_u32 v14, v8, s7
	v_mul_lo_u32 v15, v10, s6
	v_mad_u64_u32 v[10:11], s[2:3], v8, s6, 0
	v_add3_u32 v11, v11, v14, v15
	v_lshlrev_b64 v[10:11], 3, v[10:11]
	v_xor_b32_e32 v14, 0x80000000, v3
	v_mov_b32_e32 v15, v2
	v_add_co_u32_e32 v10, vcc, v7, v10
	v_pk_mul_f32 v[14:15], v[12:13], v[14:15] op_sel:[1,0]
	v_addc_co_u32_e32 v11, vcc, v9, v11, vcc
	v_pk_fma_f32 v[12:13], v[2:3], v[12:13], v[14:15] op_sel_hi:[1,0,1]
	global_store_dwordx2 v[10:11], v[12:13], off
.LBB7_57:
	s_or_b64 exec, exec, s[8:9]
	s_and_b64 exec, exec, s[0:1]
	s_cbranch_execz .LBB7_62
; %bb.58:
	s_and_saveexec_b64 s[0:1], s[4:5]
	s_xor_b64 s[0:1], exec, s[0:1]
	s_cbranch_execz .LBB7_60
; %bb.59:
	v_ashrrev_i32_e32 v8, 31, v6
	s_waitcnt lgkmcnt(0)
	v_mul_lo_u32 v12, v6, s7
	v_mul_lo_u32 v8, v8, s6
	v_mad_u64_u32 v[10:11], s[2:3], v6, s6, 0
	v_add3_u32 v11, v11, v12, v8
	v_lshlrev_b64 v[10:11], 3, v[10:11]
	v_add_co_u32_e32 v6, vcc, v7, v10
	v_addc_co_u32_e32 v7, vcc, v9, v11, vcc
	global_load_dwordx2 v[8:9], v[6:7], off
	v_xor_b32_e32 v10, 0x80000000, v3
	v_mov_b32_e32 v11, v2
	v_pk_mul_f32 v[10:11], v[0:1], v[10:11] op_sel:[1,0]
	v_pk_fma_f32 v[0:1], v[2:3], v[0:1], v[10:11] op_sel_hi:[1,0,1]
	v_xor_b32_e32 v12, 0x80000000, v5
	v_mov_b32_e32 v13, v4
                                        ; implicit-def: $vgpr3
	s_waitcnt vmcnt(0)
	v_pk_fma_f32 v[0:1], v[4:5], v[8:9], v[0:1] op_sel_hi:[1,0,1]
	v_pk_fma_f32 v[0:1], v[12:13], v[8:9], v[0:1] op_sel:[0,1,0]
	global_store_dwordx2 v[6:7], v[0:1], off
                                        ; implicit-def: $vgpr0_vgpr1
                                        ; implicit-def: $vgpr6
                                        ; implicit-def: $vgpr7
                                        ; implicit-def: $vgpr9
.LBB7_60:
	s_andn2_saveexec_b64 s[0:1], s[0:1]
	s_cbranch_execz .LBB7_62
; %bb.61:
	v_ashrrev_i32_e32 v8, 31, v6
	s_waitcnt lgkmcnt(0)
	v_mul_lo_u32 v12, v6, s7
	v_mul_lo_u32 v8, v8, s6
	v_mad_u64_u32 v[10:11], s[0:1], v6, s6, 0
	v_add3_u32 v11, v11, v12, v8
	v_xor_b32_e32 v4, 0x80000000, v3
	v_mov_b32_e32 v5, v2
	v_lshlrev_b64 v[10:11], 3, v[10:11]
	v_pk_mul_f32 v[4:5], v[0:1], v[4:5] op_sel:[1,0]
	v_add_co_u32_e32 v6, vcc, v7, v10
	v_addc_co_u32_e32 v7, vcc, v9, v11, vcc
	v_pk_fma_f32 v[0:1], v[2:3], v[0:1], v[4:5] op_sel_hi:[1,0,1]
	global_store_dwordx2 v[6:7], v[0:1], off
.LBB7_62:
	s_endpgm
	.section	.rodata,"a",@progbits
	.p2align	6, 0x0
	.amdhsa_kernel _ZN9rocsparseL33gebsrmm_large_blockdim_kernel_extILi16ELi16ELi2E21rocsparse_complex_numIfEEEv20rocsparse_direction_20rocsparse_operation_iiNS_24const_host_device_scalarIT2_EEPKiS9_PKS6_iiSB_lS7_PS6_l21rocsparse_index_base_b
		.amdhsa_group_segment_fixed_size 6144
		.amdhsa_private_segment_fixed_size 0
		.amdhsa_kernarg_size 104
		.amdhsa_user_sgpr_count 6
		.amdhsa_user_sgpr_private_segment_buffer 1
		.amdhsa_user_sgpr_dispatch_ptr 0
		.amdhsa_user_sgpr_queue_ptr 0
		.amdhsa_user_sgpr_kernarg_segment_ptr 1
		.amdhsa_user_sgpr_dispatch_id 0
		.amdhsa_user_sgpr_flat_scratch_init 0
		.amdhsa_user_sgpr_kernarg_preload_length 0
		.amdhsa_user_sgpr_kernarg_preload_offset 0
		.amdhsa_user_sgpr_private_segment_size 0
		.amdhsa_uses_dynamic_stack 0
		.amdhsa_system_sgpr_private_segment_wavefront_offset 0
		.amdhsa_system_sgpr_workgroup_id_x 1
		.amdhsa_system_sgpr_workgroup_id_y 1
		.amdhsa_system_sgpr_workgroup_id_z 0
		.amdhsa_system_sgpr_workgroup_info 0
		.amdhsa_system_vgpr_workitem_id 1
		.amdhsa_next_free_vgpr 76
		.amdhsa_next_free_sgpr 53
		.amdhsa_accum_offset 76
		.amdhsa_reserve_vcc 1
		.amdhsa_reserve_flat_scratch 0
		.amdhsa_float_round_mode_32 0
		.amdhsa_float_round_mode_16_64 0
		.amdhsa_float_denorm_mode_32 3
		.amdhsa_float_denorm_mode_16_64 3
		.amdhsa_dx10_clamp 1
		.amdhsa_ieee_mode 1
		.amdhsa_fp16_overflow 0
		.amdhsa_tg_split 0
		.amdhsa_exception_fp_ieee_invalid_op 0
		.amdhsa_exception_fp_denorm_src 0
		.amdhsa_exception_fp_ieee_div_zero 0
		.amdhsa_exception_fp_ieee_overflow 0
		.amdhsa_exception_fp_ieee_underflow 0
		.amdhsa_exception_fp_ieee_inexact 0
		.amdhsa_exception_int_div_zero 0
	.end_amdhsa_kernel
	.section	.text._ZN9rocsparseL33gebsrmm_large_blockdim_kernel_extILi16ELi16ELi2E21rocsparse_complex_numIfEEEv20rocsparse_direction_20rocsparse_operation_iiNS_24const_host_device_scalarIT2_EEPKiS9_PKS6_iiSB_lS7_PS6_l21rocsparse_index_base_b,"axG",@progbits,_ZN9rocsparseL33gebsrmm_large_blockdim_kernel_extILi16ELi16ELi2E21rocsparse_complex_numIfEEEv20rocsparse_direction_20rocsparse_operation_iiNS_24const_host_device_scalarIT2_EEPKiS9_PKS6_iiSB_lS7_PS6_l21rocsparse_index_base_b,comdat
.Lfunc_end7:
	.size	_ZN9rocsparseL33gebsrmm_large_blockdim_kernel_extILi16ELi16ELi2E21rocsparse_complex_numIfEEEv20rocsparse_direction_20rocsparse_operation_iiNS_24const_host_device_scalarIT2_EEPKiS9_PKS6_iiSB_lS7_PS6_l21rocsparse_index_base_b, .Lfunc_end7-_ZN9rocsparseL33gebsrmm_large_blockdim_kernel_extILi16ELi16ELi2E21rocsparse_complex_numIfEEEv20rocsparse_direction_20rocsparse_operation_iiNS_24const_host_device_scalarIT2_EEPKiS9_PKS6_iiSB_lS7_PS6_l21rocsparse_index_base_b
                                        ; -- End function
	.section	.AMDGPU.csdata,"",@progbits
; Kernel info:
; codeLenInByte = 2676
; NumSgprs: 57
; NumVgprs: 76
; NumAgprs: 0
; TotalNumVgprs: 76
; ScratchSize: 0
; MemoryBound: 0
; FloatMode: 240
; IeeeMode: 1
; LDSByteSize: 6144 bytes/workgroup (compile time only)
; SGPRBlocks: 7
; VGPRBlocks: 9
; NumSGPRsForWavesPerEU: 57
; NumVGPRsForWavesPerEU: 76
; AccumOffset: 76
; Occupancy: 6
; WaveLimiterHint : 1
; COMPUTE_PGM_RSRC2:SCRATCH_EN: 0
; COMPUTE_PGM_RSRC2:USER_SGPR: 6
; COMPUTE_PGM_RSRC2:TRAP_HANDLER: 0
; COMPUTE_PGM_RSRC2:TGID_X_EN: 1
; COMPUTE_PGM_RSRC2:TGID_Y_EN: 1
; COMPUTE_PGM_RSRC2:TGID_Z_EN: 0
; COMPUTE_PGM_RSRC2:TIDIG_COMP_CNT: 1
; COMPUTE_PGM_RSRC3_GFX90A:ACCUM_OFFSET: 18
; COMPUTE_PGM_RSRC3_GFX90A:TG_SPLIT: 0
	.section	.text._ZN9rocsparseL33gebsrmm_large_blockdim_kernel_extILi32ELi32ELi2E21rocsparse_complex_numIfEEEv20rocsparse_direction_20rocsparse_operation_iiNS_24const_host_device_scalarIT2_EEPKiS9_PKS6_iiSB_lS7_PS6_l21rocsparse_index_base_b,"axG",@progbits,_ZN9rocsparseL33gebsrmm_large_blockdim_kernel_extILi32ELi32ELi2E21rocsparse_complex_numIfEEEv20rocsparse_direction_20rocsparse_operation_iiNS_24const_host_device_scalarIT2_EEPKiS9_PKS6_iiSB_lS7_PS6_l21rocsparse_index_base_b,comdat
	.globl	_ZN9rocsparseL33gebsrmm_large_blockdim_kernel_extILi32ELi32ELi2E21rocsparse_complex_numIfEEEv20rocsparse_direction_20rocsparse_operation_iiNS_24const_host_device_scalarIT2_EEPKiS9_PKS6_iiSB_lS7_PS6_l21rocsparse_index_base_b ; -- Begin function _ZN9rocsparseL33gebsrmm_large_blockdim_kernel_extILi32ELi32ELi2E21rocsparse_complex_numIfEEEv20rocsparse_direction_20rocsparse_operation_iiNS_24const_host_device_scalarIT2_EEPKiS9_PKS6_iiSB_lS7_PS6_l21rocsparse_index_base_b
	.p2align	8
	.type	_ZN9rocsparseL33gebsrmm_large_blockdim_kernel_extILi32ELi32ELi2E21rocsparse_complex_numIfEEEv20rocsparse_direction_20rocsparse_operation_iiNS_24const_host_device_scalarIT2_EEPKiS9_PKS6_iiSB_lS7_PS6_l21rocsparse_index_base_b,@function
_ZN9rocsparseL33gebsrmm_large_blockdim_kernel_extILi32ELi32ELi2E21rocsparse_complex_numIfEEEv20rocsparse_direction_20rocsparse_operation_iiNS_24const_host_device_scalarIT2_EEPKiS9_PKS6_iiSB_lS7_PS6_l21rocsparse_index_base_b: ; @_ZN9rocsparseL33gebsrmm_large_blockdim_kernel_extILi32ELi32ELi2E21rocsparse_complex_numIfEEEv20rocsparse_direction_20rocsparse_operation_iiNS_24const_host_device_scalarIT2_EEPKiS9_PKS6_iiSB_lS7_PS6_l21rocsparse_index_base_b
; %bb.0:
	s_load_dwordx2 s[24:25], s[4:5], 0x60
	s_load_dwordx2 s[2:3], s[4:5], 0x10
	s_waitcnt lgkmcnt(0)
	s_bitcmp1_b32 s25, 0
	s_cselect_b64 s[0:1], -1, 0
	s_xor_b64 s[8:9], s[0:1], -1
	s_and_b64 vcc, exec, s[0:1]
	v_mov_b32_e32 v2, s2
	s_cbranch_vccnz .LBB8_2
; %bb.1:
	v_pk_mov_b32 v[2:3], s[2:3], s[2:3] op_sel:[0,1]
	flat_load_dword v2, v[2:3]
.LBB8_2:
	s_load_dwordx4 s[16:19], s[4:5], 0x40
	v_cndmask_b32_e64 v1, 0, 1, s[8:9]
	v_cmp_ne_u32_e64 s[0:1], 1, v1
	s_andn2_b64 vcc, exec, s[8:9]
	v_mov_b32_e32 v3, s3
	s_cbranch_vccz .LBB8_49
; %bb.3:
	s_and_b64 vcc, exec, s[0:1]
	s_waitcnt lgkmcnt(0)
	v_mov_b32_e32 v4, s18
	s_cbranch_vccz .LBB8_50
.LBB8_4:
	s_and_b64 vcc, exec, s[0:1]
	v_mov_b32_e32 v5, s19
	s_cbranch_vccnz .LBB8_6
.LBB8_5:
	v_pk_mov_b32 v[6:7], s[18:19], s[18:19] op_sel:[0,1]
	flat_load_dword v5, v[6:7] offset:4
.LBB8_6:
	s_waitcnt vmcnt(0)
	v_and_b32_e32 v1, 0x7fffffff, v2
	v_cmp_eq_u32_e32 vcc, 0, v1
	v_cmp_eq_f32_e64 s[0:1], 0, v3
	s_and_b64 s[8:9], vcc, s[0:1]
	s_mov_b64 s[0:1], -1
	s_and_saveexec_b64 s[2:3], s[8:9]
	s_cbranch_execz .LBB8_8
; %bb.7:
	s_waitcnt lgkmcnt(0)
	v_and_b32_e32 v1, 0x7fffffff, v5
	v_cmp_neq_f32_e32 vcc, 1.0, v4
	v_cmp_ne_u32_e64 s[0:1], 0, v1
	s_or_b64 s[0:1], vcc, s[0:1]
	s_orn2_b64 s[0:1], s[0:1], exec
.LBB8_8:
	s_or_b64 exec, exec, s[2:3]
	s_and_saveexec_b64 s[2:3], s[0:1]
	s_cbranch_execz .LBB8_62
; %bb.9:
	s_load_dwordx4 s[12:15], s[4:5], 0x0
	s_mov_b32 s10, 0
	s_mov_b32 s30, 0
	;; [unrolled: 1-line block ×3, first 2 shown]
	s_waitcnt lgkmcnt(0)
	s_cmp_lt_i32 s6, s14
	s_cselect_b64 s[26:27], -1, 0
	s_cmp_ge_i32 s6, s14
	s_cbranch_scc1 .LBB8_11
; %bb.10:
	s_load_dwordx2 s[2:3], s[4:5], 0x18
	s_mov_b32 s0, s7
	s_ashr_i32 s7, s6, 31
	s_lshl_b64 s[8:9], s[6:7], 2
	s_mov_b32 s7, s0
	s_waitcnt lgkmcnt(0)
	s_add_u32 s0, s2, s8
	s_addc_u32 s1, s3, s9
	s_load_dwordx2 s[0:1], s[0:1], 0x0
	s_waitcnt lgkmcnt(0)
	s_sub_i32 s30, s0, s24
	s_sub_i32 s25, s1, s24
.LBB8_11:
	s_load_dwordx2 s[18:19], s[4:5], 0x50
	s_load_dwordx2 s[28:29], s[4:5], 0x30
	v_bfe_u32 v14, v0, 10, 10
	v_lshl_add_u32 v8, s7, 6, v14
	v_add_u32_e32 v6, 32, v8
	v_and_b32_e32 v10, 0x3ff, v0
	s_mov_b32 s11, s10
	v_cmp_gt_i32_e64 s[2:3], s15, v8
	v_cmp_gt_i32_e64 s[0:1], s15, v6
	s_waitcnt lgkmcnt(0)
	v_cmp_gt_i32_e64 s[8:9], s28, v10
	s_cmp_ge_i32 s30, s25
	v_pk_mov_b32 v[0:1], s[10:11], s[10:11] op_sel:[0,1]
	v_pk_mov_b32 v[12:13], s[10:11], s[10:11] op_sel:[0,1]
	s_cbranch_scc1 .LBB8_51
; %bb.12:
	v_cmp_gt_i32_e32 vcc, s29, v14
	s_and_b64 s[36:37], s[8:9], vcc
	s_cmpk_lg_i32 s13, 0x6f
	s_cselect_b64 s[14:15], -1, 0
	s_cmp_eq_u32 s12, 0
	v_mov_b32_e32 v15, 0x4000
	v_mad_u64_u32 v[0:1], s[12:13], v14, s28, v[10:11]
	v_mad_u64_u32 v[12:13], s[12:13], v10, s29, v[14:15]
	s_cselect_b64 vcc, -1, 0
	s_cmp_gt_i32 s29, 0
	s_cselect_b64 s[12:13], -1, 0
	v_mad_u64_u32 v[18:19], s[38:39], v8, s16, 0
	v_mad_u64_u32 v[20:21], s[38:39], v6, s16, 0
	s_load_dwordx4 s[20:23], s[4:5], 0x20
	s_load_dwordx2 s[34:35], s[4:5], 0x38
	v_lshlrev_b32_e32 v7, 5, v14
	v_lshl_add_u32 v1, v10, 5, v14
	v_ashrrev_i32_e32 v9, 31, v8
	s_and_b64 s[38:39], s[2:3], s[12:13]
	s_and_b64 s[40:41], s[0:1], s[12:13]
	s_and_b32 s33, s29, 7
	v_lshl_add_u32 v11, v1, 3, v15
	v_add_lshl_u32 v26, v7, v10, 3
	v_ashrrev_i32_e32 v7, 31, v6
	v_mul_lo_u32 v1, v8, s17
	v_mul_lo_u32 v13, v9, s16
	s_cmp_gt_u32 s29, 7
	s_mov_b32 s46, 0
	v_add3_u32 v19, v19, v1, v13
	v_mul_lo_u32 v1, v6, s17
	v_mul_lo_u32 v13, v7, s16
	s_cselect_b64 s[42:43], -1, 0
	s_and_b32 s52, s29, 0x7ffffff8
	v_add3_u32 v21, v21, v1, v13
	v_cndmask_b32_e32 v27, v0, v12, vcc
	s_cmp_lg_u32 s33, 0
	v_lshlrev_b32_e32 v28, 8, v14
	s_mov_b32 s47, s46
	v_cndmask_b32_e64 v0, 0, 1, s[14:15]
	s_mul_i32 s7, s29, s28
	v_cmp_gt_i32_e64 s[10:11], s29, v10
	s_cselect_b64 s[44:45], -1, 0
	v_lshl_add_u32 v29, v10, 8, v15
	v_add_u32_e32 v30, 0x2000, v28
	v_pk_mov_b32 v[12:13], s[46:47], s[46:47] op_sel:[0,1]
	v_cmp_ne_u32_e64 s[12:13], 1, v0
	v_lshlrev_b64 v[14:15], 3, v[8:9]
	v_lshlrev_b64 v[16:17], 3, v[6:7]
	;; [unrolled: 1-line block ×4, first 2 shown]
	v_pk_mov_b32 v[0:1], s[46:47], s[46:47] op_sel:[0,1]
	s_branch .LBB8_15
.LBB8_13:                               ;   in Loop: Header=BB8_15 Depth=1
	s_or_b64 exec, exec, s[48:49]
.LBB8_14:                               ;   in Loop: Header=BB8_15 Depth=1
	s_or_b64 exec, exec, s[46:47]
	s_add_i32 s30, s30, 1
	s_cmp_ge_i32 s30, s25
	s_barrier
	s_cbranch_scc1 .LBB8_51
.LBB8_15:                               ; =>This Loop Header: Depth=1
                                        ;     Child Loop BB8_36 Depth 2
                                        ;     Child Loop BB8_40 Depth 2
	;; [unrolled: 1-line block ×4, first 2 shown]
	s_and_saveexec_b64 s[14:15], s[10:11]
	s_cbranch_execz .LBB8_30
; %bb.16:                               ;   in Loop: Header=BB8_15 Depth=1
	s_ashr_i32 s31, s30, 31
	s_lshl_b64 s[46:47], s[30:31], 2
	s_waitcnt lgkmcnt(0)
	s_add_u32 s46, s20, s46
	s_addc_u32 s47, s21, s47
	s_load_dword s31, s[46:47], 0x0
	s_and_b64 vcc, exec, s[12:13]
	s_waitcnt lgkmcnt(0)
	s_sub_i32 s31, s31, s24
	s_mul_i32 s31, s31, s29
	v_add_u32_e32 v22, s31, v10
	v_ashrrev_i32_e32 v23, 31, v22
	s_cbranch_vccnz .LBB8_22
; %bb.17:                               ;   in Loop: Header=BB8_15 Depth=1
	v_mul_lo_u32 v7, v23, s16
	v_mul_lo_u32 v9, v22, s17
	v_mad_u64_u32 v[24:25], s[46:47], v22, s16, 0
	v_add3_u32 v25, v25, v9, v7
	v_lshlrev_b64 v[24:25], 3, v[24:25]
	v_mov_b32_e32 v9, s35
	v_add_co_u32_e32 v7, vcc, s34, v24
	v_addc_co_u32_e32 v9, vcc, v9, v25, vcc
	s_and_saveexec_b64 s[46:47], s[2:3]
	s_cbranch_execz .LBB8_19
; %bb.18:                               ;   in Loop: Header=BB8_15 Depth=1
	v_add_co_u32_e32 v24, vcc, v7, v14
	v_addc_co_u32_e32 v25, vcc, v9, v15, vcc
	global_load_dwordx2 v[24:25], v[24:25], off
	s_waitcnt vmcnt(0)
	ds_write_b64 v26, v[24:25]
.LBB8_19:                               ;   in Loop: Header=BB8_15 Depth=1
	s_or_b64 exec, exec, s[46:47]
	s_mov_b64 s[48:49], 0
	s_mov_b64 s[46:47], 0
                                        ; implicit-def: $vgpr24_vgpr25
	s_and_saveexec_b64 s[50:51], s[0:1]
	s_xor_b64 s[50:51], exec, s[50:51]
; %bb.20:                               ;   in Loop: Header=BB8_15 Depth=1
	v_add_co_u32_e32 v24, vcc, v7, v16
	s_mov_b64 s[46:47], exec
	v_addc_co_u32_e32 v25, vcc, v9, v17, vcc
; %bb.21:                               ;   in Loop: Header=BB8_15 Depth=1
	s_or_b64 exec, exec, s[50:51]
	s_and_b64 vcc, exec, s[48:49]
	s_cbranch_vccnz .LBB8_23
	s_branch .LBB8_28
.LBB8_22:                               ;   in Loop: Header=BB8_15 Depth=1
	s_mov_b64 s[46:47], 0
                                        ; implicit-def: $vgpr24_vgpr25
	s_cbranch_execz .LBB8_28
.LBB8_23:                               ;   in Loop: Header=BB8_15 Depth=1
	v_lshlrev_b64 v[22:23], 3, v[22:23]
	v_mov_b32_e32 v9, s35
	v_add_co_u32_e32 v7, vcc, s34, v22
	v_addc_co_u32_e32 v9, vcc, v9, v23, vcc
	s_and_saveexec_b64 s[48:49], s[2:3]
	s_cbranch_execz .LBB8_25
; %bb.24:                               ;   in Loop: Header=BB8_15 Depth=1
	v_add_co_u32_e32 v22, vcc, v7, v18
	v_addc_co_u32_e32 v23, vcc, v9, v19, vcc
	global_load_dwordx2 v[22:23], v[22:23], off
	s_waitcnt vmcnt(0)
	ds_write_b64 v26, v[22:23]
.LBB8_25:                               ;   in Loop: Header=BB8_15 Depth=1
	s_or_b64 exec, exec, s[48:49]
                                        ; implicit-def: $vgpr24_vgpr25
	s_and_saveexec_b64 s[48:49], s[0:1]
; %bb.26:                               ;   in Loop: Header=BB8_15 Depth=1
	v_add_co_u32_e32 v24, vcc, v7, v20
	v_addc_co_u32_e32 v25, vcc, v9, v21, vcc
	s_or_b64 s[46:47], s[46:47], exec
; %bb.27:                               ;   in Loop: Header=BB8_15 Depth=1
	s_or_b64 exec, exec, s[48:49]
.LBB8_28:                               ;   in Loop: Header=BB8_15 Depth=1
	s_and_b64 exec, exec, s[46:47]
	s_cbranch_execz .LBB8_30
; %bb.29:                               ;   in Loop: Header=BB8_15 Depth=1
	global_load_dwordx2 v[22:23], v[24:25], off
	s_waitcnt vmcnt(0)
	ds_write_b64 v26, v[22:23] offset:8192
.LBB8_30:                               ;   in Loop: Header=BB8_15 Depth=1
	s_or_b64 exec, exec, s[14:15]
	s_and_saveexec_b64 s[14:15], s[36:37]
	s_cbranch_execz .LBB8_32
; %bb.31:                               ;   in Loop: Header=BB8_15 Depth=1
	s_mul_i32 s31, s7, s30
	v_add_u32_e32 v22, s31, v27
	v_ashrrev_i32_e32 v23, 31, v22
	v_lshlrev_b64 v[22:23], 3, v[22:23]
	s_waitcnt lgkmcnt(0)
	v_mov_b32_e32 v7, s23
	v_add_co_u32_e32 v22, vcc, s22, v22
	v_addc_co_u32_e32 v23, vcc, v7, v23, vcc
	global_load_dwordx2 v[22:23], v[22:23], off
	s_waitcnt vmcnt(0)
	ds_write_b64 v11, v[22:23]
.LBB8_32:                               ;   in Loop: Header=BB8_15 Depth=1
	s_or_b64 exec, exec, s[14:15]
	s_waitcnt lgkmcnt(0)
	s_barrier
	s_and_saveexec_b64 s[46:47], s[8:9]
	s_cbranch_execz .LBB8_14
; %bb.33:                               ;   in Loop: Header=BB8_15 Depth=1
	v_cndmask_b32_e64 v7, 0, 1, s[42:43]
	v_cmp_ne_u32_e64 s[14:15], 1, v7
	s_and_saveexec_b64 s[48:49], s[38:39]
	s_cbranch_execz .LBB8_41
; %bb.34:                               ;   in Loop: Header=BB8_15 Depth=1
	s_mov_b32 s31, 0
	s_and_b64 vcc, exec, s[14:15]
	s_cbranch_vccnz .LBB8_38
; %bb.35:                               ;   in Loop: Header=BB8_15 Depth=1
	v_mov_b32_e32 v7, v29
	v_mov_b32_e32 v9, v28
.LBB8_36:                               ;   Parent Loop BB8_15 Depth=1
                                        ; =>  This Inner Loop Header: Depth=2
	ds_read_b128 v[22:25], v9
	ds_read_b128 v[32:35], v9 offset:16
	ds_read_b128 v[36:39], v9 offset:32
	;; [unrolled: 1-line block ×3, first 2 shown]
	ds_read_b128 v[44:47], v7
	ds_read_b128 v[48:51], v7 offset:16
	ds_read_b128 v[52:55], v7 offset:32
	;; [unrolled: 1-line block ×3, first 2 shown]
	s_waitcnt lgkmcnt(7)
	v_mov_b32_e32 v62, v25
	s_waitcnt lgkmcnt(3)
	v_pk_fma_f32 v[12:13], v[44:45], v[22:23], v[12:13] op_sel_hi:[1,0,1]
	v_pk_fma_f32 v[12:13], v[44:45], v[22:23], v[12:13] op_sel:[1,1,0] op_sel_hi:[0,1,1] neg_lo:[1,0,0]
	v_xor_b32_e32 v60, 0x80000000, v47
	v_mov_b32_e32 v61, v46
	v_pk_fma_f32 v[12:13], v[46:47], v[24:25], v[12:13] op_sel_hi:[1,0,1]
	v_pk_fma_f32 v[12:13], v[60:61], v[62:63], v[12:13] op_sel_hi:[1,0,1]
	s_waitcnt lgkmcnt(2)
	v_pk_fma_f32 v[12:13], v[48:49], v[32:33], v[12:13] op_sel_hi:[1,0,1]
	v_pk_fma_f32 v[12:13], v[48:49], v[32:33], v[12:13] op_sel:[1,1,0] op_sel_hi:[0,1,1] neg_lo:[1,0,0]
	v_xor_b32_e32 v64, 0x80000000, v51
	v_mov_b32_e32 v65, v50
	v_mov_b32_e32 v66, v35
	v_pk_fma_f32 v[12:13], v[50:51], v[34:35], v[12:13] op_sel_hi:[1,0,1]
	v_pk_fma_f32 v[12:13], v[64:65], v[66:67], v[12:13] op_sel_hi:[1,0,1]
	s_waitcnt lgkmcnt(1)
	v_pk_fma_f32 v[12:13], v[52:53], v[36:37], v[12:13] op_sel_hi:[1,0,1]
	v_pk_fma_f32 v[12:13], v[52:53], v[36:37], v[12:13] op_sel:[1,1,0] op_sel_hi:[0,1,1] neg_lo:[1,0,0]
	v_xor_b32_e32 v68, 0x80000000, v55
	v_mov_b32_e32 v69, v54
	v_mov_b32_e32 v70, v39
	v_pk_fma_f32 v[12:13], v[54:55], v[38:39], v[12:13] op_sel_hi:[1,0,1]
	v_pk_fma_f32 v[12:13], v[68:69], v[70:71], v[12:13] op_sel_hi:[1,0,1]
	s_waitcnt lgkmcnt(0)
	v_pk_fma_f32 v[12:13], v[56:57], v[40:41], v[12:13] op_sel_hi:[1,0,1]
	v_pk_fma_f32 v[12:13], v[56:57], v[40:41], v[12:13] op_sel:[1,1,0] op_sel_hi:[0,1,1] neg_lo:[1,0,0]
	s_add_i32 s31, s31, 8
	v_xor_b32_e32 v72, 0x80000000, v59
	v_mov_b32_e32 v73, v58
	v_mov_b32_e32 v74, v43
	v_pk_fma_f32 v[12:13], v[58:59], v[42:43], v[12:13] op_sel_hi:[1,0,1]
	v_add_u32_e32 v9, 64, v9
	v_add_u32_e32 v7, 64, v7
	s_cmp_lg_u32 s52, s31
	v_pk_fma_f32 v[12:13], v[72:73], v[74:75], v[12:13] op_sel_hi:[1,0,1]
	s_cbranch_scc1 .LBB8_36
; %bb.37:                               ;   in Loop: Header=BB8_15 Depth=1
	s_mov_b32 s31, s52
.LBB8_38:                               ;   in Loop: Header=BB8_15 Depth=1
	s_andn2_b64 vcc, exec, s[44:45]
	s_cbranch_vccnz .LBB8_41
; %bb.39:                               ;   in Loop: Header=BB8_15 Depth=1
	s_lshl_b32 s31, s31, 3
	v_add_u32_e32 v7, s31, v28
	v_add_u32_e32 v9, s31, v29
	s_mov_b32 s31, s33
.LBB8_40:                               ;   Parent Loop BB8_15 Depth=1
                                        ; =>  This Inner Loop Header: Depth=2
	ds_read_b64 v[22:23], v7
	ds_read_b64 v[24:25], v9
	s_add_i32 s31, s31, -1
	v_add_u32_e32 v7, 8, v7
	v_add_u32_e32 v9, 8, v9
	s_cmp_lg_u32 s31, 0
	s_waitcnt lgkmcnt(0)
	v_pk_fma_f32 v[12:13], v[24:25], v[22:23], v[12:13] op_sel_hi:[1,0,1]
	v_pk_fma_f32 v[12:13], v[24:25], v[22:23], v[12:13] op_sel:[1,1,0] op_sel_hi:[0,1,1] neg_lo:[1,0,0]
	s_cbranch_scc1 .LBB8_40
.LBB8_41:                               ;   in Loop: Header=BB8_15 Depth=1
	s_or_b64 exec, exec, s[48:49]
	s_and_saveexec_b64 s[48:49], s[40:41]
	s_cbranch_execz .LBB8_13
; %bb.42:                               ;   in Loop: Header=BB8_15 Depth=1
	s_and_b64 vcc, exec, s[14:15]
	s_cbranch_vccnz .LBB8_46
; %bb.43:                               ;   in Loop: Header=BB8_15 Depth=1
	s_mov_b32 s14, 0
	v_mov_b32_e32 v7, v29
	v_mov_b32_e32 v9, v30
.LBB8_44:                               ;   Parent Loop BB8_15 Depth=1
                                        ; =>  This Inner Loop Header: Depth=2
	ds_read_b128 v[22:25], v9
	ds_read_b128 v[32:35], v9 offset:16
	ds_read_b128 v[36:39], v9 offset:32
	;; [unrolled: 1-line block ×3, first 2 shown]
	ds_read_b128 v[44:47], v7
	ds_read_b128 v[48:51], v7 offset:16
	ds_read_b128 v[52:55], v7 offset:32
	;; [unrolled: 1-line block ×3, first 2 shown]
	s_waitcnt lgkmcnt(7)
	v_mov_b32_e32 v62, v25
	s_waitcnt lgkmcnt(3)
	v_pk_fma_f32 v[0:1], v[44:45], v[22:23], v[0:1] op_sel_hi:[1,0,1]
	v_pk_fma_f32 v[0:1], v[44:45], v[22:23], v[0:1] op_sel:[1,1,0] op_sel_hi:[0,1,1] neg_lo:[1,0,0]
	v_xor_b32_e32 v60, 0x80000000, v47
	v_mov_b32_e32 v61, v46
	v_pk_fma_f32 v[0:1], v[46:47], v[24:25], v[0:1] op_sel_hi:[1,0,1]
	v_pk_fma_f32 v[0:1], v[60:61], v[62:63], v[0:1] op_sel_hi:[1,0,1]
	s_waitcnt lgkmcnt(2)
	v_pk_fma_f32 v[0:1], v[48:49], v[32:33], v[0:1] op_sel_hi:[1,0,1]
	v_pk_fma_f32 v[0:1], v[48:49], v[32:33], v[0:1] op_sel:[1,1,0] op_sel_hi:[0,1,1] neg_lo:[1,0,0]
	v_xor_b32_e32 v64, 0x80000000, v51
	v_mov_b32_e32 v65, v50
	v_mov_b32_e32 v66, v35
	v_pk_fma_f32 v[0:1], v[50:51], v[34:35], v[0:1] op_sel_hi:[1,0,1]
	v_pk_fma_f32 v[0:1], v[64:65], v[66:67], v[0:1] op_sel_hi:[1,0,1]
	s_waitcnt lgkmcnt(1)
	v_pk_fma_f32 v[0:1], v[52:53], v[36:37], v[0:1] op_sel_hi:[1,0,1]
	v_pk_fma_f32 v[0:1], v[52:53], v[36:37], v[0:1] op_sel:[1,1,0] op_sel_hi:[0,1,1] neg_lo:[1,0,0]
	v_xor_b32_e32 v68, 0x80000000, v55
	v_mov_b32_e32 v69, v54
	v_mov_b32_e32 v70, v39
	v_pk_fma_f32 v[0:1], v[54:55], v[38:39], v[0:1] op_sel_hi:[1,0,1]
	v_pk_fma_f32 v[0:1], v[68:69], v[70:71], v[0:1] op_sel_hi:[1,0,1]
	s_waitcnt lgkmcnt(0)
	v_pk_fma_f32 v[0:1], v[56:57], v[40:41], v[0:1] op_sel_hi:[1,0,1]
	v_pk_fma_f32 v[0:1], v[56:57], v[40:41], v[0:1] op_sel:[1,1,0] op_sel_hi:[0,1,1] neg_lo:[1,0,0]
	s_add_i32 s14, s14, 8
	v_xor_b32_e32 v72, 0x80000000, v59
	v_mov_b32_e32 v73, v58
	v_mov_b32_e32 v74, v43
	v_pk_fma_f32 v[0:1], v[58:59], v[42:43], v[0:1] op_sel_hi:[1,0,1]
	v_add_u32_e32 v9, 64, v9
	v_add_u32_e32 v7, 64, v7
	s_cmp_lg_u32 s52, s14
	v_pk_fma_f32 v[0:1], v[72:73], v[74:75], v[0:1] op_sel_hi:[1,0,1]
	s_cbranch_scc1 .LBB8_44
; %bb.45:                               ;   in Loop: Header=BB8_15 Depth=1
	s_mov_b32 s14, s52
	s_andn2_b64 vcc, exec, s[44:45]
	s_cbranch_vccz .LBB8_47
	s_branch .LBB8_13
.LBB8_46:                               ;   in Loop: Header=BB8_15 Depth=1
	s_mov_b32 s14, 0
	s_andn2_b64 vcc, exec, s[44:45]
	s_cbranch_vccnz .LBB8_13
.LBB8_47:                               ;   in Loop: Header=BB8_15 Depth=1
	s_lshl_b32 s14, s14, 3
	v_add_u32_e32 v7, s14, v30
	v_add_u32_e32 v9, s14, v29
	s_mov_b32 s14, s33
.LBB8_48:                               ;   Parent Loop BB8_15 Depth=1
                                        ; =>  This Inner Loop Header: Depth=2
	ds_read_b64 v[22:23], v7
	ds_read_b64 v[24:25], v9
	s_add_i32 s14, s14, -1
	v_add_u32_e32 v7, 8, v7
	v_add_u32_e32 v9, 8, v9
	s_cmp_lg_u32 s14, 0
	s_waitcnt lgkmcnt(0)
	v_pk_fma_f32 v[0:1], v[24:25], v[22:23], v[0:1] op_sel_hi:[1,0,1]
	v_pk_fma_f32 v[0:1], v[24:25], v[22:23], v[0:1] op_sel:[1,1,0] op_sel_hi:[0,1,1] neg_lo:[1,0,0]
	s_cbranch_scc1 .LBB8_48
	s_branch .LBB8_13
.LBB8_49:
	v_pk_mov_b32 v[4:5], s[2:3], s[2:3] op_sel:[0,1]
	flat_load_dword v3, v[4:5] offset:4
	s_and_b64 vcc, exec, s[0:1]
	s_waitcnt lgkmcnt(0)
	v_mov_b32_e32 v4, s18
	s_cbranch_vccnz .LBB8_4
.LBB8_50:
	v_pk_mov_b32 v[4:5], s[18:19], s[18:19] op_sel:[0,1]
	flat_load_dword v4, v[4:5]
	s_and_b64 vcc, exec, s[0:1]
	v_mov_b32_e32 v5, s19
	s_cbranch_vccz .LBB8_5
	s_branch .LBB8_6
.LBB8_51:
	s_and_b64 s[8:9], s[26:27], s[8:9]
	s_and_b64 exec, exec, s[8:9]
	s_cbranch_execz .LBB8_62
; %bb.52:
	s_mul_i32 s6, s6, s28
	v_add_u32_e32 v10, s6, v10
	s_load_dwordx2 s[6:7], s[4:5], 0x58
	v_and_b32_e32 v7, 0x7fffffff, v4
	v_ashrrev_i32_e32 v11, 31, v10
	v_cmp_ne_u32_e32 vcc, 0, v7
	v_cmp_neq_f32_e64 s[4:5], 0, v5
	v_lshlrev_b64 v[10:11], 3, v[10:11]
	s_or_b64 s[4:5], vcc, s[4:5]
	v_mov_b32_e32 v9, s19
	v_add_co_u32_e32 v7, vcc, s18, v10
	v_addc_co_u32_e32 v9, vcc, v9, v11, vcc
	s_and_saveexec_b64 s[8:9], s[2:3]
	s_cbranch_execz .LBB8_57
; %bb.53:
	s_and_saveexec_b64 s[2:3], s[4:5]
	s_xor_b64 s[2:3], exec, s[2:3]
	s_cbranch_execz .LBB8_55
; %bb.54:
	v_ashrrev_i32_e32 v10, 31, v8
	s_waitcnt lgkmcnt(0)
	v_mul_lo_u32 v14, v8, s7
	v_mul_lo_u32 v15, v10, s6
	v_mad_u64_u32 v[10:11], s[10:11], v8, s6, 0
	v_add3_u32 v11, v11, v14, v15
	v_lshlrev_b64 v[10:11], 3, v[10:11]
	v_add_co_u32_e32 v10, vcc, v7, v10
	v_addc_co_u32_e32 v11, vcc, v9, v11, vcc
	global_load_dwordx2 v[14:15], v[10:11], off
	v_xor_b32_e32 v16, 0x80000000, v3
	v_mov_b32_e32 v17, v2
	v_pk_mul_f32 v[16:17], v[12:13], v[16:17] op_sel:[1,0]
	v_pk_fma_f32 v[12:13], v[2:3], v[12:13], v[16:17] op_sel_hi:[1,0,1]
	v_xor_b32_e32 v18, 0x80000000, v5
	v_mov_b32_e32 v19, v4
                                        ; implicit-def: $vgpr8
	s_waitcnt vmcnt(0)
	v_pk_fma_f32 v[12:13], v[4:5], v[14:15], v[12:13] op_sel_hi:[1,0,1]
	v_pk_fma_f32 v[12:13], v[18:19], v[14:15], v[12:13] op_sel:[0,1,0]
	global_store_dwordx2 v[10:11], v[12:13], off
                                        ; implicit-def: $vgpr12_vgpr13
.LBB8_55:
	s_andn2_saveexec_b64 s[2:3], s[2:3]
	s_cbranch_execz .LBB8_57
; %bb.56:
	v_ashrrev_i32_e32 v10, 31, v8
	s_waitcnt lgkmcnt(0)
	v_mul_lo_u32 v14, v8, s7
	v_mul_lo_u32 v15, v10, s6
	v_mad_u64_u32 v[10:11], s[2:3], v8, s6, 0
	v_add3_u32 v11, v11, v14, v15
	v_lshlrev_b64 v[10:11], 3, v[10:11]
	v_xor_b32_e32 v14, 0x80000000, v3
	v_mov_b32_e32 v15, v2
	v_add_co_u32_e32 v10, vcc, v7, v10
	v_pk_mul_f32 v[14:15], v[12:13], v[14:15] op_sel:[1,0]
	v_addc_co_u32_e32 v11, vcc, v9, v11, vcc
	v_pk_fma_f32 v[12:13], v[2:3], v[12:13], v[14:15] op_sel_hi:[1,0,1]
	global_store_dwordx2 v[10:11], v[12:13], off
.LBB8_57:
	s_or_b64 exec, exec, s[8:9]
	s_and_b64 exec, exec, s[0:1]
	s_cbranch_execz .LBB8_62
; %bb.58:
	s_and_saveexec_b64 s[0:1], s[4:5]
	s_xor_b64 s[0:1], exec, s[0:1]
	s_cbranch_execz .LBB8_60
; %bb.59:
	v_ashrrev_i32_e32 v8, 31, v6
	s_waitcnt lgkmcnt(0)
	v_mul_lo_u32 v12, v6, s7
	v_mul_lo_u32 v8, v8, s6
	v_mad_u64_u32 v[10:11], s[2:3], v6, s6, 0
	v_add3_u32 v11, v11, v12, v8
	v_lshlrev_b64 v[10:11], 3, v[10:11]
	v_add_co_u32_e32 v6, vcc, v7, v10
	v_addc_co_u32_e32 v7, vcc, v9, v11, vcc
	global_load_dwordx2 v[8:9], v[6:7], off
	v_xor_b32_e32 v10, 0x80000000, v3
	v_mov_b32_e32 v11, v2
	v_pk_mul_f32 v[10:11], v[0:1], v[10:11] op_sel:[1,0]
	v_pk_fma_f32 v[0:1], v[2:3], v[0:1], v[10:11] op_sel_hi:[1,0,1]
	v_xor_b32_e32 v12, 0x80000000, v5
	v_mov_b32_e32 v13, v4
                                        ; implicit-def: $vgpr3
	s_waitcnt vmcnt(0)
	v_pk_fma_f32 v[0:1], v[4:5], v[8:9], v[0:1] op_sel_hi:[1,0,1]
	v_pk_fma_f32 v[0:1], v[12:13], v[8:9], v[0:1] op_sel:[0,1,0]
	global_store_dwordx2 v[6:7], v[0:1], off
                                        ; implicit-def: $vgpr0_vgpr1
                                        ; implicit-def: $vgpr6
                                        ; implicit-def: $vgpr7
                                        ; implicit-def: $vgpr9
.LBB8_60:
	s_andn2_saveexec_b64 s[0:1], s[0:1]
	s_cbranch_execz .LBB8_62
; %bb.61:
	v_ashrrev_i32_e32 v8, 31, v6
	s_waitcnt lgkmcnt(0)
	v_mul_lo_u32 v12, v6, s7
	v_mul_lo_u32 v8, v8, s6
	v_mad_u64_u32 v[10:11], s[0:1], v6, s6, 0
	v_add3_u32 v11, v11, v12, v8
	v_xor_b32_e32 v4, 0x80000000, v3
	v_mov_b32_e32 v5, v2
	v_lshlrev_b64 v[10:11], 3, v[10:11]
	v_pk_mul_f32 v[4:5], v[0:1], v[4:5] op_sel:[1,0]
	v_add_co_u32_e32 v6, vcc, v7, v10
	v_addc_co_u32_e32 v7, vcc, v9, v11, vcc
	v_pk_fma_f32 v[0:1], v[2:3], v[0:1], v[4:5] op_sel_hi:[1,0,1]
	global_store_dwordx2 v[6:7], v[0:1], off
.LBB8_62:
	s_endpgm
	.section	.rodata,"a",@progbits
	.p2align	6, 0x0
	.amdhsa_kernel _ZN9rocsparseL33gebsrmm_large_blockdim_kernel_extILi32ELi32ELi2E21rocsparse_complex_numIfEEEv20rocsparse_direction_20rocsparse_operation_iiNS_24const_host_device_scalarIT2_EEPKiS9_PKS6_iiSB_lS7_PS6_l21rocsparse_index_base_b
		.amdhsa_group_segment_fixed_size 24576
		.amdhsa_private_segment_fixed_size 0
		.amdhsa_kernarg_size 104
		.amdhsa_user_sgpr_count 6
		.amdhsa_user_sgpr_private_segment_buffer 1
		.amdhsa_user_sgpr_dispatch_ptr 0
		.amdhsa_user_sgpr_queue_ptr 0
		.amdhsa_user_sgpr_kernarg_segment_ptr 1
		.amdhsa_user_sgpr_dispatch_id 0
		.amdhsa_user_sgpr_flat_scratch_init 0
		.amdhsa_user_sgpr_kernarg_preload_length 0
		.amdhsa_user_sgpr_kernarg_preload_offset 0
		.amdhsa_user_sgpr_private_segment_size 0
		.amdhsa_uses_dynamic_stack 0
		.amdhsa_system_sgpr_private_segment_wavefront_offset 0
		.amdhsa_system_sgpr_workgroup_id_x 1
		.amdhsa_system_sgpr_workgroup_id_y 1
		.amdhsa_system_sgpr_workgroup_id_z 0
		.amdhsa_system_sgpr_workgroup_info 0
		.amdhsa_system_vgpr_workitem_id 1
		.amdhsa_next_free_vgpr 76
		.amdhsa_next_free_sgpr 53
		.amdhsa_accum_offset 76
		.amdhsa_reserve_vcc 1
		.amdhsa_reserve_flat_scratch 0
		.amdhsa_float_round_mode_32 0
		.amdhsa_float_round_mode_16_64 0
		.amdhsa_float_denorm_mode_32 3
		.amdhsa_float_denorm_mode_16_64 3
		.amdhsa_dx10_clamp 1
		.amdhsa_ieee_mode 1
		.amdhsa_fp16_overflow 0
		.amdhsa_tg_split 0
		.amdhsa_exception_fp_ieee_invalid_op 0
		.amdhsa_exception_fp_denorm_src 0
		.amdhsa_exception_fp_ieee_div_zero 0
		.amdhsa_exception_fp_ieee_overflow 0
		.amdhsa_exception_fp_ieee_underflow 0
		.amdhsa_exception_fp_ieee_inexact 0
		.amdhsa_exception_int_div_zero 0
	.end_amdhsa_kernel
	.section	.text._ZN9rocsparseL33gebsrmm_large_blockdim_kernel_extILi32ELi32ELi2E21rocsparse_complex_numIfEEEv20rocsparse_direction_20rocsparse_operation_iiNS_24const_host_device_scalarIT2_EEPKiS9_PKS6_iiSB_lS7_PS6_l21rocsparse_index_base_b,"axG",@progbits,_ZN9rocsparseL33gebsrmm_large_blockdim_kernel_extILi32ELi32ELi2E21rocsparse_complex_numIfEEEv20rocsparse_direction_20rocsparse_operation_iiNS_24const_host_device_scalarIT2_EEPKiS9_PKS6_iiSB_lS7_PS6_l21rocsparse_index_base_b,comdat
.Lfunc_end8:
	.size	_ZN9rocsparseL33gebsrmm_large_blockdim_kernel_extILi32ELi32ELi2E21rocsparse_complex_numIfEEEv20rocsparse_direction_20rocsparse_operation_iiNS_24const_host_device_scalarIT2_EEPKiS9_PKS6_iiSB_lS7_PS6_l21rocsparse_index_base_b, .Lfunc_end8-_ZN9rocsparseL33gebsrmm_large_blockdim_kernel_extILi32ELi32ELi2E21rocsparse_complex_numIfEEEv20rocsparse_direction_20rocsparse_operation_iiNS_24const_host_device_scalarIT2_EEPKiS9_PKS6_iiSB_lS7_PS6_l21rocsparse_index_base_b
                                        ; -- End function
	.section	.AMDGPU.csdata,"",@progbits
; Kernel info:
; codeLenInByte = 2676
; NumSgprs: 57
; NumVgprs: 76
; NumAgprs: 0
; TotalNumVgprs: 76
; ScratchSize: 0
; MemoryBound: 0
; FloatMode: 240
; IeeeMode: 1
; LDSByteSize: 24576 bytes/workgroup (compile time only)
; SGPRBlocks: 7
; VGPRBlocks: 9
; NumSGPRsForWavesPerEU: 57
; NumVGPRsForWavesPerEU: 76
; AccumOffset: 76
; Occupancy: 6
; WaveLimiterHint : 1
; COMPUTE_PGM_RSRC2:SCRATCH_EN: 0
; COMPUTE_PGM_RSRC2:USER_SGPR: 6
; COMPUTE_PGM_RSRC2:TRAP_HANDLER: 0
; COMPUTE_PGM_RSRC2:TGID_X_EN: 1
; COMPUTE_PGM_RSRC2:TGID_Y_EN: 1
; COMPUTE_PGM_RSRC2:TGID_Z_EN: 0
; COMPUTE_PGM_RSRC2:TIDIG_COMP_CNT: 1
; COMPUTE_PGM_RSRC3_GFX90A:ACCUM_OFFSET: 18
; COMPUTE_PGM_RSRC3_GFX90A:TG_SPLIT: 0
	.section	.text._ZN9rocsparseL33gebsrmm_large_blockdim_kernel_extILi8ELi8ELi2E21rocsparse_complex_numIdEEEv20rocsparse_direction_20rocsparse_operation_iiNS_24const_host_device_scalarIT2_EEPKiS9_PKS6_iiSB_lS7_PS6_l21rocsparse_index_base_b,"axG",@progbits,_ZN9rocsparseL33gebsrmm_large_blockdim_kernel_extILi8ELi8ELi2E21rocsparse_complex_numIdEEEv20rocsparse_direction_20rocsparse_operation_iiNS_24const_host_device_scalarIT2_EEPKiS9_PKS6_iiSB_lS7_PS6_l21rocsparse_index_base_b,comdat
	.globl	_ZN9rocsparseL33gebsrmm_large_blockdim_kernel_extILi8ELi8ELi2E21rocsparse_complex_numIdEEEv20rocsparse_direction_20rocsparse_operation_iiNS_24const_host_device_scalarIT2_EEPKiS9_PKS6_iiSB_lS7_PS6_l21rocsparse_index_base_b ; -- Begin function _ZN9rocsparseL33gebsrmm_large_blockdim_kernel_extILi8ELi8ELi2E21rocsparse_complex_numIdEEEv20rocsparse_direction_20rocsparse_operation_iiNS_24const_host_device_scalarIT2_EEPKiS9_PKS6_iiSB_lS7_PS6_l21rocsparse_index_base_b
	.p2align	8
	.type	_ZN9rocsparseL33gebsrmm_large_blockdim_kernel_extILi8ELi8ELi2E21rocsparse_complex_numIdEEEv20rocsparse_direction_20rocsparse_operation_iiNS_24const_host_device_scalarIT2_EEPKiS9_PKS6_iiSB_lS7_PS6_l21rocsparse_index_base_b,@function
_ZN9rocsparseL33gebsrmm_large_blockdim_kernel_extILi8ELi8ELi2E21rocsparse_complex_numIdEEEv20rocsparse_direction_20rocsparse_operation_iiNS_24const_host_device_scalarIT2_EEPKiS9_PKS6_iiSB_lS7_PS6_l21rocsparse_index_base_b: ; @_ZN9rocsparseL33gebsrmm_large_blockdim_kernel_extILi8ELi8ELi2E21rocsparse_complex_numIdEEEv20rocsparse_direction_20rocsparse_operation_iiNS_24const_host_device_scalarIT2_EEPKiS9_PKS6_iiSB_lS7_PS6_l21rocsparse_index_base_b
; %bb.0:
	s_add_u32 flat_scratch_lo, s6, s10
	s_addc_u32 flat_scratch_hi, s7, 0
	s_load_dwordx2 s[28:29], s[4:5], 0x70
	s_load_dwordx4 s[12:15], s[4:5], 0x10
	s_load_dwordx4 s[20:23], s[4:5], 0x48
	s_add_u32 s0, s0, s10
	s_addc_u32 s1, s1, 0
	s_waitcnt lgkmcnt(0)
	s_bitcmp1_b32 s29, 0
	v_mov_b32_e32 v1, 0
	v_mov_b32_e32 v3, s12
	s_cselect_b64 s[6:7], -1, 0
	v_cndmask_b32_e64 v2, v3, v1, s[6:7]
	v_mov_b32_e32 v1, s13
	s_mov_b64 s[10:11], src_private_base
	s_and_b64 vcc, s[6:7], exec
	buffer_store_dword v1, off, s[0:3], 0 offset:4
	buffer_store_dword v3, off, s[0:3], 0
	v_mov_b32_e32 v1, s23
	s_cselect_b32 s10, s11, s13
	buffer_store_dword v1, off, s[0:3], 0 offset:12
	v_mov_b32_e32 v1, s22
	buffer_store_dword v1, off, s[0:3], 0 offset:8
	v_mov_b32_e32 v3, s10
	flat_load_dwordx2 v[2:3], v[2:3]
	s_load_dwordx2 s[16:17], s[4:5], 0x58
	s_xor_b64 s[18:19], s[6:7], -1
	v_pk_mov_b32 v[4:5], s[14:15], s[14:15] op_sel:[0,1]
	s_cbranch_vccnz .LBB9_2
; %bb.1:
	v_pk_mov_b32 v[4:5], s[12:13], s[12:13] op_sel:[0,1]
	flat_load_dwordx2 v[4:5], v[4:5] offset:8
.LBB9_2:
	s_and_b64 s[12:13], s[6:7], exec
	s_cselect_b32 s10, s11, s23
	v_mov_b32_e32 v1, 8
	v_mov_b32_e32 v6, s22
	v_cndmask_b32_e64 v6, v6, v1, s[6:7]
	v_mov_b32_e32 v7, s10
	flat_load_dwordx2 v[6:7], v[6:7]
	s_andn2_b64 vcc, exec, s[18:19]
	s_waitcnt lgkmcnt(0)
	v_pk_mov_b32 v[8:9], s[16:17], s[16:17] op_sel:[0,1]
	s_cbranch_vccnz .LBB9_4
; %bb.3:
	v_pk_mov_b32 v[8:9], s[22:23], s[22:23] op_sel:[0,1]
	flat_load_dwordx2 v[8:9], v[8:9] offset:8
.LBB9_4:
	s_waitcnt vmcnt(0)
	v_cmp_eq_f64_e32 vcc, 0, v[2:3]
	v_cmp_eq_f64_e64 s[6:7], 0, v[4:5]
	s_and_b64 s[12:13], vcc, s[6:7]
	s_mov_b64 s[6:7], -1
	s_and_saveexec_b64 s[10:11], s[12:13]
	s_cbranch_execz .LBB9_6
; %bb.5:
	v_cmp_neq_f64_e32 vcc, 1.0, v[6:7]
	s_waitcnt lgkmcnt(0)
	v_cmp_neq_f64_e64 s[6:7], 0, v[8:9]
	s_or_b64 s[6:7], vcc, s[6:7]
	s_orn2_b64 s[6:7], s[6:7], exec
.LBB9_6:
	s_or_b64 exec, exec, s[10:11]
	s_and_saveexec_b64 s[10:11], s[6:7]
	s_cbranch_execz .LBB9_58
; %bb.7:
	s_load_dwordx4 s[16:19], s[4:5], 0x0
	s_mov_b32 s36, 0
	s_mov_b32 s29, 0
	s_waitcnt lgkmcnt(0)
	s_cmp_lt_i32 s8, s18
	s_cselect_b64 s[22:23], -1, 0
	s_cmp_ge_i32 s8, s18
	s_cbranch_scc1 .LBB9_9
; %bb.8:
	s_load_dwordx2 s[10:11], s[4:5], 0x20
	s_mov_b32 s6, s9
	s_ashr_i32 s9, s8, 31
	s_lshl_b64 s[12:13], s[8:9], 2
	s_mov_b32 s9, s6
	s_waitcnt lgkmcnt(0)
	s_add_u32 s6, s10, s12
	s_addc_u32 s7, s11, s13
	s_load_dwordx2 s[6:7], s[6:7], 0x0
	s_waitcnt lgkmcnt(0)
	s_sub_i32 s36, s6, s28
	s_sub_i32 s29, s7, s28
.LBB9_9:
	s_load_dwordx2 s[30:31], s[4:5], 0x60
	s_load_dwordx2 s[34:35], s[4:5], 0x38
	v_bfe_u32 v22, v0, 10, 10
	v_lshl_add_u32 v14, s9, 4, v22
	v_add_u32_e32 v10, 8, v14
	v_and_b32_e32 v16, 0x3ff, v0
	v_pk_mov_b32 v[0:1], 0, 0
	v_cmp_gt_i32_e64 s[10:11], s19, v14
	v_cmp_gt_i32_e64 s[6:7], s19, v10
	s_waitcnt lgkmcnt(0)
	v_cmp_gt_i32_e64 s[12:13], s34, v16
	s_cmp_ge_i32 s36, s29
	v_pk_mov_b32 v[12:13], v[0:1], v[0:1] op_sel:[0,1]
	v_pk_mov_b32 v[18:19], v[0:1], v[0:1] op_sel:[0,1]
	;; [unrolled: 1-line block ×3, first 2 shown]
	s_cbranch_scc1 .LBB9_47
; %bb.10:
	v_cmp_gt_i32_e32 vcc, s35, v22
	s_and_b64 s[40:41], s[12:13], vcc
	s_cmpk_lg_i32 s17, 0x6f
	s_cselect_b64 s[18:19], -1, 0
	s_cmp_eq_u32 s16, 0
	v_mad_u64_u32 v[0:1], s[16:17], v22, s34, v[16:17]
	v_mad_u64_u32 v[12:13], s[16:17], v16, s35, v[22:23]
	s_cselect_b64 vcc, -1, 0
	s_cmp_gt_i32 s35, 0
	s_cselect_b64 s[16:17], -1, 0
	v_mad_u64_u32 v[18:19], s[42:43], v14, s20, 0
	v_mad_u64_u32 v[28:29], s[42:43], v10, s20, 0
	s_load_dwordx4 s[24:27], s[4:5], 0x28
	s_load_dwordx2 s[38:39], s[4:5], 0x40
	v_lshlrev_b32_e32 v11, 3, v22
	v_lshl_add_u32 v1, v16, 3, v22
	v_mov_b32_e32 v20, 0x800
	v_ashrrev_i32_e32 v15, 31, v14
	s_and_b64 s[42:43], s[10:11], s[16:17]
	s_and_b64 s[44:45], s[6:7], s[16:17]
	s_and_b32 s33, s35, 7
	v_lshl_add_u32 v17, v1, 4, v20
	v_add_lshl_u32 v34, v11, v16, 4
	v_ashrrev_i32_e32 v11, 31, v10
	v_mul_lo_u32 v1, v14, s21
	v_mul_lo_u32 v13, v15, s20
	s_cmp_gt_u32 s35, 7
	v_add3_u32 v19, v19, v1, v13
	v_mul_lo_u32 v1, v10, s21
	v_mul_lo_u32 v13, v11, s20
	s_cselect_b64 s[46:47], -1, 0
	s_and_b32 s56, s35, 0x7ffffff8
	v_add3_u32 v29, v29, v1, v13
	v_cndmask_b32_e32 v36, v0, v12, vcc
	s_cmp_lg_u32 s33, 0
	v_lshlrev_b32_e32 v37, 7, v22
	v_lshl_add_u32 v38, v16, 7, v20
	v_pk_mov_b32 v[20:21], 0, 0
	v_cndmask_b32_e64 v0, 0, 1, s[18:19]
	s_mul_i32 s9, s35, s34
	v_cmp_gt_i32_e64 s[14:15], s35, v16
	v_add_u32_e32 v35, 0x400, v34
	s_cselect_b64 s[48:49], -1, 0
	v_add_u32_e32 v39, 0x400, v37
	v_cmp_ne_u32_e64 s[16:17], 1, v0
	v_lshlrev_b64 v[22:23], 4, v[14:15]
	v_lshlrev_b64 v[24:25], 4, v[10:11]
	v_lshlrev_b64 v[26:27], 4, v[18:19]
	v_lshlrev_b64 v[28:29], 4, v[28:29]
	v_pk_mov_b32 v[18:19], v[20:21], v[20:21] op_sel:[0,1]
	v_pk_mov_b32 v[12:13], v[20:21], v[20:21] op_sel:[0,1]
	;; [unrolled: 1-line block ×3, first 2 shown]
	s_branch .LBB9_13
.LBB9_11:                               ;   in Loop: Header=BB9_13 Depth=1
	s_or_b64 exec, exec, s[52:53]
.LBB9_12:                               ;   in Loop: Header=BB9_13 Depth=1
	s_or_b64 exec, exec, s[50:51]
	s_add_i32 s36, s36, 1
	s_cmp_ge_i32 s36, s29
	s_waitcnt lgkmcnt(0)
	; wave barrier
	s_cbranch_scc1 .LBB9_47
.LBB9_13:                               ; =>This Loop Header: Depth=1
                                        ;     Child Loop BB9_34 Depth 2
                                        ;     Child Loop BB9_38 Depth 2
                                        ;     Child Loop BB9_42 Depth 2
                                        ;     Child Loop BB9_46 Depth 2
	s_and_saveexec_b64 s[18:19], s[14:15]
	s_cbranch_execz .LBB9_28
; %bb.14:                               ;   in Loop: Header=BB9_13 Depth=1
	s_ashr_i32 s37, s36, 31
	s_lshl_b64 s[50:51], s[36:37], 2
	s_waitcnt lgkmcnt(0)
	s_add_u32 s50, s24, s50
	s_addc_u32 s51, s25, s51
	s_load_dword s37, s[50:51], 0x0
	s_and_b64 vcc, exec, s[16:17]
	s_waitcnt lgkmcnt(0)
	s_sub_i32 s37, s37, s28
	s_mul_i32 s37, s37, s35
	v_add_u32_e32 v30, s37, v16
	v_ashrrev_i32_e32 v31, 31, v30
	s_cbranch_vccnz .LBB9_20
; %bb.15:                               ;   in Loop: Header=BB9_13 Depth=1
	v_mul_lo_u32 v11, v31, s20
	v_mul_lo_u32 v15, v30, s21
	v_mad_u64_u32 v[32:33], s[50:51], v30, s20, 0
	v_add3_u32 v33, v33, v15, v11
	v_lshlrev_b64 v[32:33], 4, v[32:33]
	v_mov_b32_e32 v15, s39
	v_add_co_u32_e32 v11, vcc, s38, v32
	v_addc_co_u32_e32 v15, vcc, v15, v33, vcc
	s_and_saveexec_b64 s[50:51], s[10:11]
	s_cbranch_execz .LBB9_17
; %bb.16:                               ;   in Loop: Header=BB9_13 Depth=1
	v_add_co_u32_e32 v32, vcc, v11, v22
	v_addc_co_u32_e32 v33, vcc, v15, v23, vcc
	global_load_dwordx4 v[40:43], v[32:33], off
	s_waitcnt vmcnt(0)
	ds_write2_b64 v34, v[40:41], v[42:43] offset1:1
.LBB9_17:                               ;   in Loop: Header=BB9_13 Depth=1
	s_or_b64 exec, exec, s[50:51]
	s_mov_b64 s[52:53], 0
	s_mov_b64 s[50:51], 0
                                        ; implicit-def: $vgpr32_vgpr33
	s_and_saveexec_b64 s[54:55], s[6:7]
	s_xor_b64 s[54:55], exec, s[54:55]
; %bb.18:                               ;   in Loop: Header=BB9_13 Depth=1
	v_add_co_u32_e32 v32, vcc, v11, v24
	s_mov_b64 s[50:51], exec
	v_addc_co_u32_e32 v33, vcc, v15, v25, vcc
; %bb.19:                               ;   in Loop: Header=BB9_13 Depth=1
	s_or_b64 exec, exec, s[54:55]
	s_and_b64 vcc, exec, s[52:53]
	s_cbranch_vccnz .LBB9_21
	s_branch .LBB9_26
.LBB9_20:                               ;   in Loop: Header=BB9_13 Depth=1
	s_mov_b64 s[50:51], 0
                                        ; implicit-def: $vgpr32_vgpr33
	s_cbranch_execz .LBB9_26
.LBB9_21:                               ;   in Loop: Header=BB9_13 Depth=1
	v_lshlrev_b64 v[30:31], 4, v[30:31]
	v_mov_b32_e32 v15, s39
	v_add_co_u32_e32 v11, vcc, s38, v30
	v_addc_co_u32_e32 v15, vcc, v15, v31, vcc
	s_and_saveexec_b64 s[52:53], s[10:11]
	s_cbranch_execz .LBB9_23
; %bb.22:                               ;   in Loop: Header=BB9_13 Depth=1
	v_add_co_u32_e32 v30, vcc, v11, v26
	v_addc_co_u32_e32 v31, vcc, v15, v27, vcc
	global_load_dwordx4 v[30:33], v[30:31], off
	s_waitcnt vmcnt(0)
	ds_write2_b64 v34, v[30:31], v[32:33] offset1:1
.LBB9_23:                               ;   in Loop: Header=BB9_13 Depth=1
	s_or_b64 exec, exec, s[52:53]
                                        ; implicit-def: $vgpr32_vgpr33
	s_and_saveexec_b64 s[52:53], s[6:7]
; %bb.24:                               ;   in Loop: Header=BB9_13 Depth=1
	v_add_co_u32_e32 v32, vcc, v11, v28
	v_addc_co_u32_e32 v33, vcc, v15, v29, vcc
	s_or_b64 s[50:51], s[50:51], exec
; %bb.25:                               ;   in Loop: Header=BB9_13 Depth=1
	s_or_b64 exec, exec, s[52:53]
.LBB9_26:                               ;   in Loop: Header=BB9_13 Depth=1
	s_and_b64 exec, exec, s[50:51]
	s_cbranch_execz .LBB9_28
; %bb.27:                               ;   in Loop: Header=BB9_13 Depth=1
	global_load_dwordx4 v[30:33], v[32:33], off
	s_waitcnt vmcnt(0)
	ds_write2_b64 v35, v[30:31], v[32:33] offset1:1
.LBB9_28:                               ;   in Loop: Header=BB9_13 Depth=1
	s_or_b64 exec, exec, s[18:19]
	s_and_saveexec_b64 s[18:19], s[40:41]
	s_cbranch_execz .LBB9_30
; %bb.29:                               ;   in Loop: Header=BB9_13 Depth=1
	s_mul_i32 s37, s9, s36
	v_add_u32_e32 v30, s37, v36
	v_ashrrev_i32_e32 v31, 31, v30
	v_lshlrev_b64 v[30:31], 4, v[30:31]
	s_waitcnt lgkmcnt(0)
	v_mov_b32_e32 v11, s27
	v_add_co_u32_e32 v30, vcc, s26, v30
	v_addc_co_u32_e32 v31, vcc, v11, v31, vcc
	global_load_dwordx4 v[30:33], v[30:31], off
	s_waitcnt vmcnt(0)
	ds_write2_b64 v17, v[30:31], v[32:33] offset1:1
.LBB9_30:                               ;   in Loop: Header=BB9_13 Depth=1
	s_or_b64 exec, exec, s[18:19]
	s_waitcnt lgkmcnt(0)
	; wave barrier
	s_waitcnt lgkmcnt(0)
	s_and_saveexec_b64 s[50:51], s[12:13]
	s_cbranch_execz .LBB9_12
; %bb.31:                               ;   in Loop: Header=BB9_13 Depth=1
	v_cndmask_b32_e64 v11, 0, 1, s[46:47]
	v_cmp_ne_u32_e64 s[18:19], 1, v11
	s_and_saveexec_b64 s[52:53], s[42:43]
	s_cbranch_execz .LBB9_39
; %bb.32:                               ;   in Loop: Header=BB9_13 Depth=1
	s_mov_b32 s37, 0
	s_and_b64 vcc, exec, s[18:19]
	s_cbranch_vccnz .LBB9_36
; %bb.33:                               ;   in Loop: Header=BB9_13 Depth=1
	v_mov_b32_e32 v11, v38
	v_mov_b32_e32 v15, v37
.LBB9_34:                               ;   Parent Loop BB9_13 Depth=1
                                        ; =>  This Inner Loop Header: Depth=2
	ds_read_b128 v[30:33], v11
	ds_read_b128 v[40:43], v11 offset:16
	ds_read_b128 v[44:47], v11 offset:32
	;; [unrolled: 1-line block ×3, first 2 shown]
	ds_read_b128 v[52:55], v15
	ds_read_b128 v[56:59], v15 offset:16
	ds_read_b128 v[60:63], v15 offset:32
	;; [unrolled: 1-line block ×11, first 2 shown]
	s_waitcnt lgkmcnt(11)
	v_fmac_f64_e32 v[20:21], v[30:31], v[52:53]
	v_fmac_f64_e32 v[18:19], v[32:33], v[52:53]
	v_fma_f64 v[20:21], -v[32:33], v[54:55], v[20:21]
	v_fmac_f64_e32 v[18:19], v[30:31], v[54:55]
	s_waitcnt lgkmcnt(10)
	v_fmac_f64_e32 v[20:21], v[40:41], v[56:57]
	v_fmac_f64_e32 v[18:19], v[42:43], v[56:57]
	v_fma_f64 v[20:21], -v[42:43], v[58:59], v[20:21]
	v_fmac_f64_e32 v[18:19], v[40:41], v[58:59]
	;; [unrolled: 5-line block ×7, first 2 shown]
	s_add_i32 s37, s37, 8
	s_waitcnt lgkmcnt(0)
	v_fmac_f64_e32 v[20:21], v[88:89], v[96:97]
	v_fmac_f64_e32 v[18:19], v[90:91], v[96:97]
	v_add_u32_e32 v15, 0x80, v15
	v_add_u32_e32 v11, 0x80, v11
	s_cmp_lg_u32 s56, s37
	v_fma_f64 v[20:21], -v[90:91], v[98:99], v[20:21]
	v_fmac_f64_e32 v[18:19], v[88:89], v[98:99]
	s_cbranch_scc1 .LBB9_34
; %bb.35:                               ;   in Loop: Header=BB9_13 Depth=1
	s_mov_b32 s37, s56
.LBB9_36:                               ;   in Loop: Header=BB9_13 Depth=1
	s_andn2_b64 vcc, exec, s[48:49]
	s_cbranch_vccnz .LBB9_39
; %bb.37:                               ;   in Loop: Header=BB9_13 Depth=1
	s_lshl_b32 s37, s37, 4
	v_add_u32_e32 v11, s37, v37
	v_add_u32_e32 v15, s37, v38
	s_mov_b32 s37, s33
.LBB9_38:                               ;   Parent Loop BB9_13 Depth=1
                                        ; =>  This Inner Loop Header: Depth=2
	ds_read_b128 v[30:33], v15
	ds_read_b128 v[40:43], v11
	s_add_i32 s37, s37, -1
	v_add_u32_e32 v11, 16, v11
	v_add_u32_e32 v15, 16, v15
	s_cmp_lg_u32 s37, 0
	s_waitcnt lgkmcnt(0)
	v_fmac_f64_e32 v[20:21], v[30:31], v[40:41]
	v_fmac_f64_e32 v[18:19], v[32:33], v[40:41]
	v_fma_f64 v[20:21], -v[32:33], v[42:43], v[20:21]
	v_fmac_f64_e32 v[18:19], v[30:31], v[42:43]
	s_cbranch_scc1 .LBB9_38
.LBB9_39:                               ;   in Loop: Header=BB9_13 Depth=1
	s_or_b64 exec, exec, s[52:53]
	s_and_saveexec_b64 s[52:53], s[44:45]
	s_cbranch_execz .LBB9_11
; %bb.40:                               ;   in Loop: Header=BB9_13 Depth=1
	s_and_b64 vcc, exec, s[18:19]
	s_cbranch_vccnz .LBB9_44
; %bb.41:                               ;   in Loop: Header=BB9_13 Depth=1
	s_mov_b32 s18, 0
	v_mov_b32_e32 v11, v38
	v_mov_b32_e32 v15, v39
.LBB9_42:                               ;   Parent Loop BB9_13 Depth=1
                                        ; =>  This Inner Loop Header: Depth=2
	ds_read_b128 v[30:33], v11
	ds_read_b128 v[40:43], v11 offset:16
	ds_read_b128 v[44:47], v11 offset:32
	;; [unrolled: 1-line block ×3, first 2 shown]
	ds_read_b128 v[52:55], v15
	ds_read_b128 v[56:59], v15 offset:16
	ds_read_b128 v[60:63], v15 offset:32
	;; [unrolled: 1-line block ×11, first 2 shown]
	s_waitcnt lgkmcnt(11)
	v_fmac_f64_e32 v[12:13], v[30:31], v[52:53]
	v_fmac_f64_e32 v[0:1], v[32:33], v[52:53]
	v_fma_f64 v[12:13], -v[32:33], v[54:55], v[12:13]
	v_fmac_f64_e32 v[0:1], v[30:31], v[54:55]
	s_waitcnt lgkmcnt(10)
	v_fmac_f64_e32 v[12:13], v[40:41], v[56:57]
	v_fmac_f64_e32 v[0:1], v[42:43], v[56:57]
	v_fma_f64 v[12:13], -v[42:43], v[58:59], v[12:13]
	v_fmac_f64_e32 v[0:1], v[40:41], v[58:59]
	;; [unrolled: 5-line block ×7, first 2 shown]
	s_add_i32 s18, s18, 8
	s_waitcnt lgkmcnt(0)
	v_fmac_f64_e32 v[12:13], v[88:89], v[96:97]
	v_fmac_f64_e32 v[0:1], v[90:91], v[96:97]
	v_add_u32_e32 v15, 0x80, v15
	v_add_u32_e32 v11, 0x80, v11
	s_cmp_lg_u32 s56, s18
	v_fma_f64 v[12:13], -v[90:91], v[98:99], v[12:13]
	v_fmac_f64_e32 v[0:1], v[88:89], v[98:99]
	s_cbranch_scc1 .LBB9_42
; %bb.43:                               ;   in Loop: Header=BB9_13 Depth=1
	s_mov_b32 s18, s56
	s_andn2_b64 vcc, exec, s[48:49]
	s_cbranch_vccz .LBB9_45
	s_branch .LBB9_11
.LBB9_44:                               ;   in Loop: Header=BB9_13 Depth=1
	s_mov_b32 s18, 0
	s_andn2_b64 vcc, exec, s[48:49]
	s_cbranch_vccnz .LBB9_11
.LBB9_45:                               ;   in Loop: Header=BB9_13 Depth=1
	s_lshl_b32 s18, s18, 4
	v_add_u32_e32 v11, s18, v39
	v_add_u32_e32 v15, s18, v38
	s_mov_b32 s18, s33
.LBB9_46:                               ;   Parent Loop BB9_13 Depth=1
                                        ; =>  This Inner Loop Header: Depth=2
	ds_read_b128 v[30:33], v15
	ds_read_b128 v[40:43], v11
	s_add_i32 s18, s18, -1
	v_add_u32_e32 v11, 16, v11
	v_add_u32_e32 v15, 16, v15
	s_cmp_lg_u32 s18, 0
	s_waitcnt lgkmcnt(0)
	v_fmac_f64_e32 v[12:13], v[30:31], v[40:41]
	v_fmac_f64_e32 v[0:1], v[32:33], v[40:41]
	v_fma_f64 v[12:13], -v[32:33], v[42:43], v[12:13]
	v_fmac_f64_e32 v[0:1], v[30:31], v[42:43]
	s_cbranch_scc1 .LBB9_46
	s_branch .LBB9_11
.LBB9_47:
	s_and_b64 s[12:13], s[22:23], s[12:13]
	s_and_b64 exec, exec, s[12:13]
	s_cbranch_execz .LBB9_58
; %bb.48:
	s_mul_i32 s8, s8, s34
	v_add_u32_e32 v16, s8, v16
	s_load_dwordx2 s[8:9], s[4:5], 0x68
	v_ashrrev_i32_e32 v17, 31, v16
	v_cmp_neq_f64_e32 vcc, 0, v[6:7]
	v_cmp_neq_f64_e64 s[4:5], 0, v[8:9]
	v_lshlrev_b64 v[16:17], 4, v[16:17]
	s_or_b64 s[4:5], vcc, s[4:5]
	v_mov_b32_e32 v15, s31
	v_add_co_u32_e32 v11, vcc, s30, v16
	v_addc_co_u32_e32 v15, vcc, v15, v17, vcc
	s_and_saveexec_b64 s[12:13], s[10:11]
	s_cbranch_execz .LBB9_53
; %bb.49:
	s_and_saveexec_b64 s[10:11], s[4:5]
	s_xor_b64 s[10:11], exec, s[10:11]
	s_cbranch_execz .LBB9_51
; %bb.50:
	v_ashrrev_i32_e32 v16, 31, v14
	s_waitcnt lgkmcnt(0)
	v_mul_lo_u32 v22, v14, s9
	v_mul_lo_u32 v23, v16, s8
	v_mad_u64_u32 v[16:17], s[14:15], v14, s8, 0
	v_add3_u32 v17, v17, v22, v23
	v_lshlrev_b64 v[16:17], 4, v[16:17]
	v_add_co_u32_e32 v26, vcc, v11, v16
	v_addc_co_u32_e32 v27, vcc, v15, v17, vcc
	global_load_dwordx4 v[22:25], v[26:27], off
	v_mul_f64 v[16:17], v[18:19], -v[4:5]
	v_mul_f64 v[18:19], v[2:3], v[18:19]
	v_fmac_f64_e32 v[16:17], v[2:3], v[20:21]
	v_fmac_f64_e32 v[18:19], v[4:5], v[20:21]
                                        ; implicit-def: $vgpr20_vgpr21
                                        ; implicit-def: $vgpr14
	s_waitcnt vmcnt(0)
	v_fmac_f64_e32 v[16:17], v[6:7], v[22:23]
	v_fmac_f64_e32 v[18:19], v[8:9], v[22:23]
	v_fma_f64 v[16:17], -v[8:9], v[24:25], v[16:17]
	v_fmac_f64_e32 v[18:19], v[6:7], v[24:25]
	global_store_dwordx4 v[26:27], v[16:19], off
                                        ; implicit-def: $vgpr18_vgpr19
.LBB9_51:
	s_andn2_saveexec_b64 s[10:11], s[10:11]
	s_cbranch_execz .LBB9_53
; %bb.52:
	v_mul_f64 v[16:17], v[18:19], -v[4:5]
	v_mul_f64 v[18:19], v[2:3], v[18:19]
	v_fmac_f64_e32 v[16:17], v[2:3], v[20:21]
	v_fmac_f64_e32 v[18:19], v[4:5], v[20:21]
	v_ashrrev_i32_e32 v20, 31, v14
	s_waitcnt lgkmcnt(0)
	v_mul_lo_u32 v22, v14, s9
	v_mul_lo_u32 v23, v20, s8
	v_mad_u64_u32 v[20:21], s[10:11], v14, s8, 0
	v_add3_u32 v21, v21, v22, v23
	v_lshlrev_b64 v[20:21], 4, v[20:21]
	v_add_co_u32_e32 v20, vcc, v11, v20
	v_addc_co_u32_e32 v21, vcc, v15, v21, vcc
	global_store_dwordx4 v[20:21], v[16:19], off
.LBB9_53:
	s_or_b64 exec, exec, s[12:13]
	s_and_b64 exec, exec, s[6:7]
	s_cbranch_execz .LBB9_58
; %bb.54:
	s_and_saveexec_b64 s[6:7], s[4:5]
	s_xor_b64 s[4:5], exec, s[6:7]
	s_cbranch_execz .LBB9_56
; %bb.55:
	v_ashrrev_i32_e32 v14, 31, v10
	s_waitcnt lgkmcnt(0)
	v_mul_lo_u32 v18, v10, s9
	v_mul_lo_u32 v14, v14, s8
	v_mad_u64_u32 v[16:17], s[6:7], v10, s8, 0
	v_add3_u32 v17, v17, v18, v14
	v_lshlrev_b64 v[16:17], 4, v[16:17]
	v_add_co_u32_e32 v18, vcc, v11, v16
	v_addc_co_u32_e32 v19, vcc, v15, v17, vcc
	global_load_dwordx4 v[14:17], v[18:19], off
	v_mul_f64 v[20:21], v[0:1], -v[4:5]
	v_mul_f64 v[10:11], v[2:3], v[0:1]
	v_fmac_f64_e32 v[20:21], v[2:3], v[12:13]
	v_fmac_f64_e32 v[10:11], v[4:5], v[12:13]
                                        ; implicit-def: $vgpr0_vgpr1
                                        ; implicit-def: $vgpr4_vgpr5
                                        ; implicit-def: $vgpr2_vgpr3
                                        ; implicit-def: $vgpr12_vgpr13
	s_waitcnt vmcnt(0)
	v_fmac_f64_e32 v[20:21], v[6:7], v[14:15]
	v_fmac_f64_e32 v[10:11], v[8:9], v[14:15]
	v_fma_f64 v[8:9], -v[8:9], v[16:17], v[20:21]
	v_fmac_f64_e32 v[10:11], v[6:7], v[16:17]
	global_store_dwordx4 v[18:19], v[8:11], off
                                        ; implicit-def: $vgpr10
                                        ; implicit-def: $vgpr11
                                        ; implicit-def: $vgpr15
.LBB9_56:
	s_andn2_saveexec_b64 s[4:5], s[4:5]
	s_cbranch_execz .LBB9_58
; %bb.57:
	v_mul_f64 v[6:7], v[0:1], -v[4:5]
	v_mul_f64 v[8:9], v[2:3], v[0:1]
	v_ashrrev_i32_e32 v0, 31, v10
	v_fmac_f64_e32 v[6:7], v[2:3], v[12:13]
	s_waitcnt lgkmcnt(0)
	v_mul_lo_u32 v2, v10, s9
	v_mul_lo_u32 v3, v0, s8
	v_mad_u64_u32 v[0:1], s[4:5], v10, s8, 0
	v_add3_u32 v1, v1, v2, v3
	v_lshlrev_b64 v[0:1], 4, v[0:1]
	v_add_co_u32_e32 v0, vcc, v11, v0
	v_fmac_f64_e32 v[8:9], v[4:5], v[12:13]
	v_addc_co_u32_e32 v1, vcc, v15, v1, vcc
	global_store_dwordx4 v[0:1], v[6:9], off
.LBB9_58:
	s_endpgm
	.section	.rodata,"a",@progbits
	.p2align	6, 0x0
	.amdhsa_kernel _ZN9rocsparseL33gebsrmm_large_blockdim_kernel_extILi8ELi8ELi2E21rocsparse_complex_numIdEEEv20rocsparse_direction_20rocsparse_operation_iiNS_24const_host_device_scalarIT2_EEPKiS9_PKS6_iiSB_lS7_PS6_l21rocsparse_index_base_b
		.amdhsa_group_segment_fixed_size 3072
		.amdhsa_private_segment_fixed_size 24
		.amdhsa_kernarg_size 120
		.amdhsa_user_sgpr_count 8
		.amdhsa_user_sgpr_private_segment_buffer 1
		.amdhsa_user_sgpr_dispatch_ptr 0
		.amdhsa_user_sgpr_queue_ptr 0
		.amdhsa_user_sgpr_kernarg_segment_ptr 1
		.amdhsa_user_sgpr_dispatch_id 0
		.amdhsa_user_sgpr_flat_scratch_init 1
		.amdhsa_user_sgpr_kernarg_preload_length 0
		.amdhsa_user_sgpr_kernarg_preload_offset 0
		.amdhsa_user_sgpr_private_segment_size 0
		.amdhsa_uses_dynamic_stack 0
		.amdhsa_system_sgpr_private_segment_wavefront_offset 1
		.amdhsa_system_sgpr_workgroup_id_x 1
		.amdhsa_system_sgpr_workgroup_id_y 1
		.amdhsa_system_sgpr_workgroup_id_z 0
		.amdhsa_system_sgpr_workgroup_info 0
		.amdhsa_system_vgpr_workitem_id 1
		.amdhsa_next_free_vgpr 100
		.amdhsa_next_free_sgpr 57
		.amdhsa_accum_offset 100
		.amdhsa_reserve_vcc 1
		.amdhsa_reserve_flat_scratch 1
		.amdhsa_float_round_mode_32 0
		.amdhsa_float_round_mode_16_64 0
		.amdhsa_float_denorm_mode_32 3
		.amdhsa_float_denorm_mode_16_64 3
		.amdhsa_dx10_clamp 1
		.amdhsa_ieee_mode 1
		.amdhsa_fp16_overflow 0
		.amdhsa_tg_split 0
		.amdhsa_exception_fp_ieee_invalid_op 0
		.amdhsa_exception_fp_denorm_src 0
		.amdhsa_exception_fp_ieee_div_zero 0
		.amdhsa_exception_fp_ieee_overflow 0
		.amdhsa_exception_fp_ieee_underflow 0
		.amdhsa_exception_fp_ieee_inexact 0
		.amdhsa_exception_int_div_zero 0
	.end_amdhsa_kernel
	.section	.text._ZN9rocsparseL33gebsrmm_large_blockdim_kernel_extILi8ELi8ELi2E21rocsparse_complex_numIdEEEv20rocsparse_direction_20rocsparse_operation_iiNS_24const_host_device_scalarIT2_EEPKiS9_PKS6_iiSB_lS7_PS6_l21rocsparse_index_base_b,"axG",@progbits,_ZN9rocsparseL33gebsrmm_large_blockdim_kernel_extILi8ELi8ELi2E21rocsparse_complex_numIdEEEv20rocsparse_direction_20rocsparse_operation_iiNS_24const_host_device_scalarIT2_EEPKiS9_PKS6_iiSB_lS7_PS6_l21rocsparse_index_base_b,comdat
.Lfunc_end9:
	.size	_ZN9rocsparseL33gebsrmm_large_blockdim_kernel_extILi8ELi8ELi2E21rocsparse_complex_numIdEEEv20rocsparse_direction_20rocsparse_operation_iiNS_24const_host_device_scalarIT2_EEPKiS9_PKS6_iiSB_lS7_PS6_l21rocsparse_index_base_b, .Lfunc_end9-_ZN9rocsparseL33gebsrmm_large_blockdim_kernel_extILi8ELi8ELi2E21rocsparse_complex_numIdEEEv20rocsparse_direction_20rocsparse_operation_iiNS_24const_host_device_scalarIT2_EEPKiS9_PKS6_iiSB_lS7_PS6_l21rocsparse_index_base_b
                                        ; -- End function
	.section	.AMDGPU.csdata,"",@progbits
; Kernel info:
; codeLenInByte = 2800
; NumSgprs: 63
; NumVgprs: 100
; NumAgprs: 0
; TotalNumVgprs: 100
; ScratchSize: 24
; MemoryBound: 0
; FloatMode: 240
; IeeeMode: 1
; LDSByteSize: 3072 bytes/workgroup (compile time only)
; SGPRBlocks: 7
; VGPRBlocks: 12
; NumSGPRsForWavesPerEU: 63
; NumVGPRsForWavesPerEU: 100
; AccumOffset: 100
; Occupancy: 4
; WaveLimiterHint : 1
; COMPUTE_PGM_RSRC2:SCRATCH_EN: 1
; COMPUTE_PGM_RSRC2:USER_SGPR: 8
; COMPUTE_PGM_RSRC2:TRAP_HANDLER: 0
; COMPUTE_PGM_RSRC2:TGID_X_EN: 1
; COMPUTE_PGM_RSRC2:TGID_Y_EN: 1
; COMPUTE_PGM_RSRC2:TGID_Z_EN: 0
; COMPUTE_PGM_RSRC2:TIDIG_COMP_CNT: 1
; COMPUTE_PGM_RSRC3_GFX90A:ACCUM_OFFSET: 24
; COMPUTE_PGM_RSRC3_GFX90A:TG_SPLIT: 0
	.section	.text._ZN9rocsparseL33gebsrmm_large_blockdim_kernel_extILi16ELi16ELi2E21rocsparse_complex_numIdEEEv20rocsparse_direction_20rocsparse_operation_iiNS_24const_host_device_scalarIT2_EEPKiS9_PKS6_iiSB_lS7_PS6_l21rocsparse_index_base_b,"axG",@progbits,_ZN9rocsparseL33gebsrmm_large_blockdim_kernel_extILi16ELi16ELi2E21rocsparse_complex_numIdEEEv20rocsparse_direction_20rocsparse_operation_iiNS_24const_host_device_scalarIT2_EEPKiS9_PKS6_iiSB_lS7_PS6_l21rocsparse_index_base_b,comdat
	.globl	_ZN9rocsparseL33gebsrmm_large_blockdim_kernel_extILi16ELi16ELi2E21rocsparse_complex_numIdEEEv20rocsparse_direction_20rocsparse_operation_iiNS_24const_host_device_scalarIT2_EEPKiS9_PKS6_iiSB_lS7_PS6_l21rocsparse_index_base_b ; -- Begin function _ZN9rocsparseL33gebsrmm_large_blockdim_kernel_extILi16ELi16ELi2E21rocsparse_complex_numIdEEEv20rocsparse_direction_20rocsparse_operation_iiNS_24const_host_device_scalarIT2_EEPKiS9_PKS6_iiSB_lS7_PS6_l21rocsparse_index_base_b
	.p2align	8
	.type	_ZN9rocsparseL33gebsrmm_large_blockdim_kernel_extILi16ELi16ELi2E21rocsparse_complex_numIdEEEv20rocsparse_direction_20rocsparse_operation_iiNS_24const_host_device_scalarIT2_EEPKiS9_PKS6_iiSB_lS7_PS6_l21rocsparse_index_base_b,@function
_ZN9rocsparseL33gebsrmm_large_blockdim_kernel_extILi16ELi16ELi2E21rocsparse_complex_numIdEEEv20rocsparse_direction_20rocsparse_operation_iiNS_24const_host_device_scalarIT2_EEPKiS9_PKS6_iiSB_lS7_PS6_l21rocsparse_index_base_b: ; @_ZN9rocsparseL33gebsrmm_large_blockdim_kernel_extILi16ELi16ELi2E21rocsparse_complex_numIdEEEv20rocsparse_direction_20rocsparse_operation_iiNS_24const_host_device_scalarIT2_EEPKiS9_PKS6_iiSB_lS7_PS6_l21rocsparse_index_base_b
; %bb.0:
	s_add_u32 flat_scratch_lo, s6, s10
	s_addc_u32 flat_scratch_hi, s7, 0
	s_load_dwordx2 s[28:29], s[4:5], 0x70
	s_load_dwordx4 s[12:15], s[4:5], 0x10
	s_load_dwordx4 s[20:23], s[4:5], 0x48
	s_add_u32 s0, s0, s10
	s_addc_u32 s1, s1, 0
	s_waitcnt lgkmcnt(0)
	s_bitcmp1_b32 s29, 0
	v_mov_b32_e32 v1, 0
	v_mov_b32_e32 v3, s12
	s_cselect_b64 s[6:7], -1, 0
	v_cndmask_b32_e64 v2, v3, v1, s[6:7]
	v_mov_b32_e32 v1, s13
	s_mov_b64 s[10:11], src_private_base
	s_and_b64 vcc, s[6:7], exec
	buffer_store_dword v1, off, s[0:3], 0 offset:4
	buffer_store_dword v3, off, s[0:3], 0
	v_mov_b32_e32 v1, s23
	s_cselect_b32 s10, s11, s13
	buffer_store_dword v1, off, s[0:3], 0 offset:12
	v_mov_b32_e32 v1, s22
	buffer_store_dword v1, off, s[0:3], 0 offset:8
	v_mov_b32_e32 v3, s10
	flat_load_dwordx2 v[2:3], v[2:3]
	s_load_dwordx2 s[16:17], s[4:5], 0x58
	s_xor_b64 s[18:19], s[6:7], -1
	v_pk_mov_b32 v[4:5], s[14:15], s[14:15] op_sel:[0,1]
	s_cbranch_vccnz .LBB10_2
; %bb.1:
	v_pk_mov_b32 v[4:5], s[12:13], s[12:13] op_sel:[0,1]
	flat_load_dwordx2 v[4:5], v[4:5] offset:8
.LBB10_2:
	s_and_b64 s[12:13], s[6:7], exec
	s_cselect_b32 s10, s11, s23
	v_mov_b32_e32 v1, 8
	v_mov_b32_e32 v6, s22
	v_cndmask_b32_e64 v6, v6, v1, s[6:7]
	v_mov_b32_e32 v7, s10
	flat_load_dwordx2 v[6:7], v[6:7]
	s_andn2_b64 vcc, exec, s[18:19]
	s_waitcnt lgkmcnt(0)
	v_pk_mov_b32 v[8:9], s[16:17], s[16:17] op_sel:[0,1]
	s_cbranch_vccnz .LBB10_4
; %bb.3:
	v_pk_mov_b32 v[8:9], s[22:23], s[22:23] op_sel:[0,1]
	flat_load_dwordx2 v[8:9], v[8:9] offset:8
.LBB10_4:
	s_waitcnt vmcnt(0)
	v_cmp_eq_f64_e32 vcc, 0, v[2:3]
	v_cmp_eq_f64_e64 s[6:7], 0, v[4:5]
	s_and_b64 s[12:13], vcc, s[6:7]
	s_mov_b64 s[6:7], -1
	s_and_saveexec_b64 s[10:11], s[12:13]
	s_cbranch_execz .LBB10_6
; %bb.5:
	v_cmp_neq_f64_e32 vcc, 1.0, v[6:7]
	s_waitcnt lgkmcnt(0)
	v_cmp_neq_f64_e64 s[6:7], 0, v[8:9]
	s_or_b64 s[6:7], vcc, s[6:7]
	s_orn2_b64 s[6:7], s[6:7], exec
.LBB10_6:
	s_or_b64 exec, exec, s[10:11]
	s_and_saveexec_b64 s[10:11], s[6:7]
	s_cbranch_execz .LBB10_58
; %bb.7:
	s_load_dwordx4 s[16:19], s[4:5], 0x0
	s_mov_b32 s36, 0
	s_mov_b32 s29, 0
	s_waitcnt lgkmcnt(0)
	s_cmp_lt_i32 s8, s18
	s_cselect_b64 s[22:23], -1, 0
	s_cmp_ge_i32 s8, s18
	s_cbranch_scc1 .LBB10_9
; %bb.8:
	s_load_dwordx2 s[10:11], s[4:5], 0x20
	s_mov_b32 s6, s9
	s_ashr_i32 s9, s8, 31
	s_lshl_b64 s[12:13], s[8:9], 2
	s_mov_b32 s9, s6
	s_waitcnt lgkmcnt(0)
	s_add_u32 s6, s10, s12
	s_addc_u32 s7, s11, s13
	s_load_dwordx2 s[6:7], s[6:7], 0x0
	s_waitcnt lgkmcnt(0)
	s_sub_i32 s36, s6, s28
	s_sub_i32 s29, s7, s28
.LBB10_9:
	s_load_dwordx2 s[30:31], s[4:5], 0x60
	s_load_dwordx2 s[34:35], s[4:5], 0x38
	v_bfe_u32 v22, v0, 10, 10
	v_lshl_add_u32 v14, s9, 5, v22
	v_add_u32_e32 v10, 16, v14
	v_and_b32_e32 v16, 0x3ff, v0
	v_pk_mov_b32 v[0:1], 0, 0
	v_cmp_gt_i32_e64 s[10:11], s19, v14
	v_cmp_gt_i32_e64 s[6:7], s19, v10
	s_waitcnt lgkmcnt(0)
	v_cmp_gt_i32_e64 s[12:13], s34, v16
	s_cmp_ge_i32 s36, s29
	v_pk_mov_b32 v[12:13], v[0:1], v[0:1] op_sel:[0,1]
	v_pk_mov_b32 v[18:19], v[0:1], v[0:1] op_sel:[0,1]
	;; [unrolled: 1-line block ×3, first 2 shown]
	s_cbranch_scc1 .LBB10_47
; %bb.10:
	v_cmp_gt_i32_e32 vcc, s35, v22
	s_and_b64 s[40:41], s[12:13], vcc
	s_cmpk_lg_i32 s17, 0x6f
	s_cselect_b64 s[18:19], -1, 0
	s_cmp_eq_u32 s16, 0
	v_mad_u64_u32 v[0:1], s[16:17], v22, s34, v[16:17]
	v_mad_u64_u32 v[12:13], s[16:17], v16, s35, v[22:23]
	s_cselect_b64 vcc, -1, 0
	s_cmp_gt_i32 s35, 0
	s_cselect_b64 s[16:17], -1, 0
	v_mad_u64_u32 v[18:19], s[42:43], v14, s20, 0
	v_mad_u64_u32 v[28:29], s[42:43], v10, s20, 0
	s_load_dwordx4 s[24:27], s[4:5], 0x28
	s_load_dwordx2 s[38:39], s[4:5], 0x40
	v_lshlrev_b32_e32 v11, 4, v22
	v_lshl_add_u32 v1, v16, 4, v22
	v_mov_b32_e32 v20, 0x2000
	v_ashrrev_i32_e32 v15, 31, v14
	s_and_b64 s[42:43], s[10:11], s[16:17]
	s_and_b64 s[44:45], s[6:7], s[16:17]
	s_and_b32 s33, s35, 7
	v_lshl_add_u32 v17, v1, 4, v20
	v_add_lshl_u32 v34, v11, v16, 4
	v_ashrrev_i32_e32 v11, 31, v10
	v_mul_lo_u32 v1, v14, s21
	v_mul_lo_u32 v13, v15, s20
	s_cmp_gt_u32 s35, 7
	v_add3_u32 v19, v19, v1, v13
	v_mul_lo_u32 v1, v10, s21
	v_mul_lo_u32 v13, v11, s20
	s_cselect_b64 s[46:47], -1, 0
	s_and_b32 s56, s35, 0x7ffffff8
	v_add3_u32 v29, v29, v1, v13
	v_cndmask_b32_e32 v36, v0, v12, vcc
	s_cmp_lg_u32 s33, 0
	v_lshlrev_b32_e32 v37, 8, v22
	v_lshl_add_u32 v38, v16, 8, v20
	v_pk_mov_b32 v[20:21], 0, 0
	v_cndmask_b32_e64 v0, 0, 1, s[18:19]
	s_mul_i32 s9, s35, s34
	v_cmp_gt_i32_e64 s[14:15], s35, v16
	v_add_u32_e32 v35, 0x1000, v34
	s_cselect_b64 s[48:49], -1, 0
	v_add_u32_e32 v39, 0x1000, v37
	v_cmp_ne_u32_e64 s[16:17], 1, v0
	v_lshlrev_b64 v[22:23], 4, v[14:15]
	v_lshlrev_b64 v[24:25], 4, v[10:11]
	v_lshlrev_b64 v[26:27], 4, v[18:19]
	v_lshlrev_b64 v[28:29], 4, v[28:29]
	v_pk_mov_b32 v[18:19], v[20:21], v[20:21] op_sel:[0,1]
	v_pk_mov_b32 v[12:13], v[20:21], v[20:21] op_sel:[0,1]
	;; [unrolled: 1-line block ×3, first 2 shown]
	s_branch .LBB10_13
.LBB10_11:                              ;   in Loop: Header=BB10_13 Depth=1
	s_or_b64 exec, exec, s[52:53]
.LBB10_12:                              ;   in Loop: Header=BB10_13 Depth=1
	s_or_b64 exec, exec, s[50:51]
	s_add_i32 s36, s36, 1
	s_cmp_ge_i32 s36, s29
	s_barrier
	s_cbranch_scc1 .LBB10_47
.LBB10_13:                              ; =>This Loop Header: Depth=1
                                        ;     Child Loop BB10_34 Depth 2
                                        ;     Child Loop BB10_38 Depth 2
	;; [unrolled: 1-line block ×4, first 2 shown]
	s_and_saveexec_b64 s[18:19], s[14:15]
	s_cbranch_execz .LBB10_28
; %bb.14:                               ;   in Loop: Header=BB10_13 Depth=1
	s_ashr_i32 s37, s36, 31
	s_lshl_b64 s[50:51], s[36:37], 2
	s_waitcnt lgkmcnt(0)
	s_add_u32 s50, s24, s50
	s_addc_u32 s51, s25, s51
	s_load_dword s37, s[50:51], 0x0
	s_and_b64 vcc, exec, s[16:17]
	s_waitcnt lgkmcnt(0)
	s_sub_i32 s37, s37, s28
	s_mul_i32 s37, s37, s35
	v_add_u32_e32 v30, s37, v16
	v_ashrrev_i32_e32 v31, 31, v30
	s_cbranch_vccnz .LBB10_20
; %bb.15:                               ;   in Loop: Header=BB10_13 Depth=1
	v_mul_lo_u32 v11, v31, s20
	v_mul_lo_u32 v15, v30, s21
	v_mad_u64_u32 v[32:33], s[50:51], v30, s20, 0
	v_add3_u32 v33, v33, v15, v11
	v_lshlrev_b64 v[32:33], 4, v[32:33]
	v_mov_b32_e32 v15, s39
	v_add_co_u32_e32 v11, vcc, s38, v32
	v_addc_co_u32_e32 v15, vcc, v15, v33, vcc
	s_and_saveexec_b64 s[50:51], s[10:11]
	s_cbranch_execz .LBB10_17
; %bb.16:                               ;   in Loop: Header=BB10_13 Depth=1
	v_add_co_u32_e32 v32, vcc, v11, v22
	v_addc_co_u32_e32 v33, vcc, v15, v23, vcc
	global_load_dwordx4 v[40:43], v[32:33], off
	s_waitcnt vmcnt(0)
	ds_write2_b64 v34, v[40:41], v[42:43] offset1:1
.LBB10_17:                              ;   in Loop: Header=BB10_13 Depth=1
	s_or_b64 exec, exec, s[50:51]
	s_mov_b64 s[52:53], 0
	s_mov_b64 s[50:51], 0
                                        ; implicit-def: $vgpr32_vgpr33
	s_and_saveexec_b64 s[54:55], s[6:7]
	s_xor_b64 s[54:55], exec, s[54:55]
; %bb.18:                               ;   in Loop: Header=BB10_13 Depth=1
	v_add_co_u32_e32 v32, vcc, v11, v24
	s_mov_b64 s[50:51], exec
	v_addc_co_u32_e32 v33, vcc, v15, v25, vcc
; %bb.19:                               ;   in Loop: Header=BB10_13 Depth=1
	s_or_b64 exec, exec, s[54:55]
	s_and_b64 vcc, exec, s[52:53]
	s_cbranch_vccnz .LBB10_21
	s_branch .LBB10_26
.LBB10_20:                              ;   in Loop: Header=BB10_13 Depth=1
	s_mov_b64 s[50:51], 0
                                        ; implicit-def: $vgpr32_vgpr33
	s_cbranch_execz .LBB10_26
.LBB10_21:                              ;   in Loop: Header=BB10_13 Depth=1
	v_lshlrev_b64 v[30:31], 4, v[30:31]
	v_mov_b32_e32 v15, s39
	v_add_co_u32_e32 v11, vcc, s38, v30
	v_addc_co_u32_e32 v15, vcc, v15, v31, vcc
	s_and_saveexec_b64 s[52:53], s[10:11]
	s_cbranch_execz .LBB10_23
; %bb.22:                               ;   in Loop: Header=BB10_13 Depth=1
	v_add_co_u32_e32 v30, vcc, v11, v26
	v_addc_co_u32_e32 v31, vcc, v15, v27, vcc
	global_load_dwordx4 v[30:33], v[30:31], off
	s_waitcnt vmcnt(0)
	ds_write2_b64 v34, v[30:31], v[32:33] offset1:1
.LBB10_23:                              ;   in Loop: Header=BB10_13 Depth=1
	s_or_b64 exec, exec, s[52:53]
                                        ; implicit-def: $vgpr32_vgpr33
	s_and_saveexec_b64 s[52:53], s[6:7]
; %bb.24:                               ;   in Loop: Header=BB10_13 Depth=1
	v_add_co_u32_e32 v32, vcc, v11, v28
	v_addc_co_u32_e32 v33, vcc, v15, v29, vcc
	s_or_b64 s[50:51], s[50:51], exec
; %bb.25:                               ;   in Loop: Header=BB10_13 Depth=1
	s_or_b64 exec, exec, s[52:53]
.LBB10_26:                              ;   in Loop: Header=BB10_13 Depth=1
	s_and_b64 exec, exec, s[50:51]
	s_cbranch_execz .LBB10_28
; %bb.27:                               ;   in Loop: Header=BB10_13 Depth=1
	global_load_dwordx4 v[30:33], v[32:33], off
	s_waitcnt vmcnt(0)
	ds_write2_b64 v35, v[30:31], v[32:33] offset1:1
.LBB10_28:                              ;   in Loop: Header=BB10_13 Depth=1
	s_or_b64 exec, exec, s[18:19]
	s_and_saveexec_b64 s[18:19], s[40:41]
	s_cbranch_execz .LBB10_30
; %bb.29:                               ;   in Loop: Header=BB10_13 Depth=1
	s_mul_i32 s37, s9, s36
	v_add_u32_e32 v30, s37, v36
	v_ashrrev_i32_e32 v31, 31, v30
	v_lshlrev_b64 v[30:31], 4, v[30:31]
	s_waitcnt lgkmcnt(0)
	v_mov_b32_e32 v11, s27
	v_add_co_u32_e32 v30, vcc, s26, v30
	v_addc_co_u32_e32 v31, vcc, v11, v31, vcc
	global_load_dwordx4 v[30:33], v[30:31], off
	s_waitcnt vmcnt(0)
	ds_write2_b64 v17, v[30:31], v[32:33] offset1:1
.LBB10_30:                              ;   in Loop: Header=BB10_13 Depth=1
	s_or_b64 exec, exec, s[18:19]
	s_waitcnt lgkmcnt(0)
	s_barrier
	s_and_saveexec_b64 s[50:51], s[12:13]
	s_cbranch_execz .LBB10_12
; %bb.31:                               ;   in Loop: Header=BB10_13 Depth=1
	v_cndmask_b32_e64 v11, 0, 1, s[46:47]
	v_cmp_ne_u32_e64 s[18:19], 1, v11
	s_and_saveexec_b64 s[52:53], s[42:43]
	s_cbranch_execz .LBB10_39
; %bb.32:                               ;   in Loop: Header=BB10_13 Depth=1
	s_mov_b32 s37, 0
	s_and_b64 vcc, exec, s[18:19]
	s_cbranch_vccnz .LBB10_36
; %bb.33:                               ;   in Loop: Header=BB10_13 Depth=1
	v_mov_b32_e32 v11, v38
	v_mov_b32_e32 v15, v37
.LBB10_34:                              ;   Parent Loop BB10_13 Depth=1
                                        ; =>  This Inner Loop Header: Depth=2
	ds_read_b128 v[30:33], v11
	ds_read_b128 v[40:43], v11 offset:16
	ds_read_b128 v[44:47], v11 offset:32
	;; [unrolled: 1-line block ×3, first 2 shown]
	ds_read_b128 v[52:55], v15
	ds_read_b128 v[56:59], v15 offset:16
	ds_read_b128 v[60:63], v15 offset:32
	;; [unrolled: 1-line block ×11, first 2 shown]
	s_waitcnt lgkmcnt(11)
	v_fmac_f64_e32 v[20:21], v[30:31], v[52:53]
	v_fmac_f64_e32 v[18:19], v[32:33], v[52:53]
	v_fma_f64 v[20:21], -v[32:33], v[54:55], v[20:21]
	v_fmac_f64_e32 v[18:19], v[30:31], v[54:55]
	s_waitcnt lgkmcnt(10)
	v_fmac_f64_e32 v[20:21], v[40:41], v[56:57]
	v_fmac_f64_e32 v[18:19], v[42:43], v[56:57]
	v_fma_f64 v[20:21], -v[42:43], v[58:59], v[20:21]
	v_fmac_f64_e32 v[18:19], v[40:41], v[58:59]
	;; [unrolled: 5-line block ×7, first 2 shown]
	s_add_i32 s37, s37, 8
	s_waitcnt lgkmcnt(0)
	v_fmac_f64_e32 v[20:21], v[88:89], v[96:97]
	v_fmac_f64_e32 v[18:19], v[90:91], v[96:97]
	v_add_u32_e32 v15, 0x80, v15
	v_add_u32_e32 v11, 0x80, v11
	s_cmp_lg_u32 s56, s37
	v_fma_f64 v[20:21], -v[90:91], v[98:99], v[20:21]
	v_fmac_f64_e32 v[18:19], v[88:89], v[98:99]
	s_cbranch_scc1 .LBB10_34
; %bb.35:                               ;   in Loop: Header=BB10_13 Depth=1
	s_mov_b32 s37, s56
.LBB10_36:                              ;   in Loop: Header=BB10_13 Depth=1
	s_andn2_b64 vcc, exec, s[48:49]
	s_cbranch_vccnz .LBB10_39
; %bb.37:                               ;   in Loop: Header=BB10_13 Depth=1
	s_lshl_b32 s37, s37, 4
	v_add_u32_e32 v11, s37, v37
	v_add_u32_e32 v15, s37, v38
	s_mov_b32 s37, s33
.LBB10_38:                              ;   Parent Loop BB10_13 Depth=1
                                        ; =>  This Inner Loop Header: Depth=2
	ds_read_b128 v[30:33], v15
	ds_read_b128 v[40:43], v11
	s_add_i32 s37, s37, -1
	v_add_u32_e32 v11, 16, v11
	v_add_u32_e32 v15, 16, v15
	s_cmp_lg_u32 s37, 0
	s_waitcnt lgkmcnt(0)
	v_fmac_f64_e32 v[20:21], v[30:31], v[40:41]
	v_fmac_f64_e32 v[18:19], v[32:33], v[40:41]
	v_fma_f64 v[20:21], -v[32:33], v[42:43], v[20:21]
	v_fmac_f64_e32 v[18:19], v[30:31], v[42:43]
	s_cbranch_scc1 .LBB10_38
.LBB10_39:                              ;   in Loop: Header=BB10_13 Depth=1
	s_or_b64 exec, exec, s[52:53]
	s_and_saveexec_b64 s[52:53], s[44:45]
	s_cbranch_execz .LBB10_11
; %bb.40:                               ;   in Loop: Header=BB10_13 Depth=1
	s_and_b64 vcc, exec, s[18:19]
	s_cbranch_vccnz .LBB10_44
; %bb.41:                               ;   in Loop: Header=BB10_13 Depth=1
	s_mov_b32 s18, 0
	v_mov_b32_e32 v11, v38
	v_mov_b32_e32 v15, v39
.LBB10_42:                              ;   Parent Loop BB10_13 Depth=1
                                        ; =>  This Inner Loop Header: Depth=2
	ds_read_b128 v[30:33], v11
	ds_read_b128 v[40:43], v11 offset:16
	ds_read_b128 v[44:47], v11 offset:32
	;; [unrolled: 1-line block ×3, first 2 shown]
	ds_read_b128 v[52:55], v15
	ds_read_b128 v[56:59], v15 offset:16
	ds_read_b128 v[60:63], v15 offset:32
	;; [unrolled: 1-line block ×11, first 2 shown]
	s_waitcnt lgkmcnt(11)
	v_fmac_f64_e32 v[12:13], v[30:31], v[52:53]
	v_fmac_f64_e32 v[0:1], v[32:33], v[52:53]
	v_fma_f64 v[12:13], -v[32:33], v[54:55], v[12:13]
	v_fmac_f64_e32 v[0:1], v[30:31], v[54:55]
	s_waitcnt lgkmcnt(10)
	v_fmac_f64_e32 v[12:13], v[40:41], v[56:57]
	v_fmac_f64_e32 v[0:1], v[42:43], v[56:57]
	v_fma_f64 v[12:13], -v[42:43], v[58:59], v[12:13]
	v_fmac_f64_e32 v[0:1], v[40:41], v[58:59]
	;; [unrolled: 5-line block ×7, first 2 shown]
	s_add_i32 s18, s18, 8
	s_waitcnt lgkmcnt(0)
	v_fmac_f64_e32 v[12:13], v[88:89], v[96:97]
	v_fmac_f64_e32 v[0:1], v[90:91], v[96:97]
	v_add_u32_e32 v15, 0x80, v15
	v_add_u32_e32 v11, 0x80, v11
	s_cmp_lg_u32 s56, s18
	v_fma_f64 v[12:13], -v[90:91], v[98:99], v[12:13]
	v_fmac_f64_e32 v[0:1], v[88:89], v[98:99]
	s_cbranch_scc1 .LBB10_42
; %bb.43:                               ;   in Loop: Header=BB10_13 Depth=1
	s_mov_b32 s18, s56
	s_andn2_b64 vcc, exec, s[48:49]
	s_cbranch_vccz .LBB10_45
	s_branch .LBB10_11
.LBB10_44:                              ;   in Loop: Header=BB10_13 Depth=1
	s_mov_b32 s18, 0
	s_andn2_b64 vcc, exec, s[48:49]
	s_cbranch_vccnz .LBB10_11
.LBB10_45:                              ;   in Loop: Header=BB10_13 Depth=1
	s_lshl_b32 s18, s18, 4
	v_add_u32_e32 v11, s18, v39
	v_add_u32_e32 v15, s18, v38
	s_mov_b32 s18, s33
.LBB10_46:                              ;   Parent Loop BB10_13 Depth=1
                                        ; =>  This Inner Loop Header: Depth=2
	ds_read_b128 v[30:33], v15
	ds_read_b128 v[40:43], v11
	s_add_i32 s18, s18, -1
	v_add_u32_e32 v11, 16, v11
	v_add_u32_e32 v15, 16, v15
	s_cmp_lg_u32 s18, 0
	s_waitcnt lgkmcnt(0)
	v_fmac_f64_e32 v[12:13], v[30:31], v[40:41]
	v_fmac_f64_e32 v[0:1], v[32:33], v[40:41]
	v_fma_f64 v[12:13], -v[32:33], v[42:43], v[12:13]
	v_fmac_f64_e32 v[0:1], v[30:31], v[42:43]
	s_cbranch_scc1 .LBB10_46
	s_branch .LBB10_11
.LBB10_47:
	s_and_b64 s[12:13], s[22:23], s[12:13]
	s_and_b64 exec, exec, s[12:13]
	s_cbranch_execz .LBB10_58
; %bb.48:
	s_mul_i32 s8, s8, s34
	v_add_u32_e32 v16, s8, v16
	s_load_dwordx2 s[8:9], s[4:5], 0x68
	v_ashrrev_i32_e32 v17, 31, v16
	v_cmp_neq_f64_e32 vcc, 0, v[6:7]
	v_cmp_neq_f64_e64 s[4:5], 0, v[8:9]
	v_lshlrev_b64 v[16:17], 4, v[16:17]
	s_or_b64 s[4:5], vcc, s[4:5]
	v_mov_b32_e32 v15, s31
	v_add_co_u32_e32 v11, vcc, s30, v16
	v_addc_co_u32_e32 v15, vcc, v15, v17, vcc
	s_and_saveexec_b64 s[12:13], s[10:11]
	s_cbranch_execz .LBB10_53
; %bb.49:
	s_and_saveexec_b64 s[10:11], s[4:5]
	s_xor_b64 s[10:11], exec, s[10:11]
	s_cbranch_execz .LBB10_51
; %bb.50:
	v_ashrrev_i32_e32 v16, 31, v14
	s_waitcnt lgkmcnt(0)
	v_mul_lo_u32 v22, v14, s9
	v_mul_lo_u32 v23, v16, s8
	v_mad_u64_u32 v[16:17], s[14:15], v14, s8, 0
	v_add3_u32 v17, v17, v22, v23
	v_lshlrev_b64 v[16:17], 4, v[16:17]
	v_add_co_u32_e32 v26, vcc, v11, v16
	v_addc_co_u32_e32 v27, vcc, v15, v17, vcc
	global_load_dwordx4 v[22:25], v[26:27], off
	v_mul_f64 v[16:17], v[18:19], -v[4:5]
	v_mul_f64 v[18:19], v[2:3], v[18:19]
	v_fmac_f64_e32 v[16:17], v[2:3], v[20:21]
	v_fmac_f64_e32 v[18:19], v[4:5], v[20:21]
                                        ; implicit-def: $vgpr20_vgpr21
                                        ; implicit-def: $vgpr14
	s_waitcnt vmcnt(0)
	v_fmac_f64_e32 v[16:17], v[6:7], v[22:23]
	v_fmac_f64_e32 v[18:19], v[8:9], v[22:23]
	v_fma_f64 v[16:17], -v[8:9], v[24:25], v[16:17]
	v_fmac_f64_e32 v[18:19], v[6:7], v[24:25]
	global_store_dwordx4 v[26:27], v[16:19], off
                                        ; implicit-def: $vgpr18_vgpr19
.LBB10_51:
	s_andn2_saveexec_b64 s[10:11], s[10:11]
	s_cbranch_execz .LBB10_53
; %bb.52:
	v_mul_f64 v[16:17], v[18:19], -v[4:5]
	v_mul_f64 v[18:19], v[2:3], v[18:19]
	v_fmac_f64_e32 v[16:17], v[2:3], v[20:21]
	v_fmac_f64_e32 v[18:19], v[4:5], v[20:21]
	v_ashrrev_i32_e32 v20, 31, v14
	s_waitcnt lgkmcnt(0)
	v_mul_lo_u32 v22, v14, s9
	v_mul_lo_u32 v23, v20, s8
	v_mad_u64_u32 v[20:21], s[10:11], v14, s8, 0
	v_add3_u32 v21, v21, v22, v23
	v_lshlrev_b64 v[20:21], 4, v[20:21]
	v_add_co_u32_e32 v20, vcc, v11, v20
	v_addc_co_u32_e32 v21, vcc, v15, v21, vcc
	global_store_dwordx4 v[20:21], v[16:19], off
.LBB10_53:
	s_or_b64 exec, exec, s[12:13]
	s_and_b64 exec, exec, s[6:7]
	s_cbranch_execz .LBB10_58
; %bb.54:
	s_and_saveexec_b64 s[6:7], s[4:5]
	s_xor_b64 s[4:5], exec, s[6:7]
	s_cbranch_execz .LBB10_56
; %bb.55:
	v_ashrrev_i32_e32 v14, 31, v10
	s_waitcnt lgkmcnt(0)
	v_mul_lo_u32 v18, v10, s9
	v_mul_lo_u32 v14, v14, s8
	v_mad_u64_u32 v[16:17], s[6:7], v10, s8, 0
	v_add3_u32 v17, v17, v18, v14
	v_lshlrev_b64 v[16:17], 4, v[16:17]
	v_add_co_u32_e32 v18, vcc, v11, v16
	v_addc_co_u32_e32 v19, vcc, v15, v17, vcc
	global_load_dwordx4 v[14:17], v[18:19], off
	v_mul_f64 v[20:21], v[0:1], -v[4:5]
	v_mul_f64 v[10:11], v[2:3], v[0:1]
	v_fmac_f64_e32 v[20:21], v[2:3], v[12:13]
	v_fmac_f64_e32 v[10:11], v[4:5], v[12:13]
                                        ; implicit-def: $vgpr0_vgpr1
                                        ; implicit-def: $vgpr4_vgpr5
                                        ; implicit-def: $vgpr2_vgpr3
                                        ; implicit-def: $vgpr12_vgpr13
	s_waitcnt vmcnt(0)
	v_fmac_f64_e32 v[20:21], v[6:7], v[14:15]
	v_fmac_f64_e32 v[10:11], v[8:9], v[14:15]
	v_fma_f64 v[8:9], -v[8:9], v[16:17], v[20:21]
	v_fmac_f64_e32 v[10:11], v[6:7], v[16:17]
	global_store_dwordx4 v[18:19], v[8:11], off
                                        ; implicit-def: $vgpr10
                                        ; implicit-def: $vgpr11
                                        ; implicit-def: $vgpr15
.LBB10_56:
	s_andn2_saveexec_b64 s[4:5], s[4:5]
	s_cbranch_execz .LBB10_58
; %bb.57:
	v_mul_f64 v[6:7], v[0:1], -v[4:5]
	v_mul_f64 v[8:9], v[2:3], v[0:1]
	v_ashrrev_i32_e32 v0, 31, v10
	v_fmac_f64_e32 v[6:7], v[2:3], v[12:13]
	s_waitcnt lgkmcnt(0)
	v_mul_lo_u32 v2, v10, s9
	v_mul_lo_u32 v3, v0, s8
	v_mad_u64_u32 v[0:1], s[4:5], v10, s8, 0
	v_add3_u32 v1, v1, v2, v3
	v_lshlrev_b64 v[0:1], 4, v[0:1]
	v_add_co_u32_e32 v0, vcc, v11, v0
	v_fmac_f64_e32 v[8:9], v[4:5], v[12:13]
	v_addc_co_u32_e32 v1, vcc, v15, v1, vcc
	global_store_dwordx4 v[0:1], v[6:9], off
.LBB10_58:
	s_endpgm
	.section	.rodata,"a",@progbits
	.p2align	6, 0x0
	.amdhsa_kernel _ZN9rocsparseL33gebsrmm_large_blockdim_kernel_extILi16ELi16ELi2E21rocsparse_complex_numIdEEEv20rocsparse_direction_20rocsparse_operation_iiNS_24const_host_device_scalarIT2_EEPKiS9_PKS6_iiSB_lS7_PS6_l21rocsparse_index_base_b
		.amdhsa_group_segment_fixed_size 12288
		.amdhsa_private_segment_fixed_size 24
		.amdhsa_kernarg_size 120
		.amdhsa_user_sgpr_count 8
		.amdhsa_user_sgpr_private_segment_buffer 1
		.amdhsa_user_sgpr_dispatch_ptr 0
		.amdhsa_user_sgpr_queue_ptr 0
		.amdhsa_user_sgpr_kernarg_segment_ptr 1
		.amdhsa_user_sgpr_dispatch_id 0
		.amdhsa_user_sgpr_flat_scratch_init 1
		.amdhsa_user_sgpr_kernarg_preload_length 0
		.amdhsa_user_sgpr_kernarg_preload_offset 0
		.amdhsa_user_sgpr_private_segment_size 0
		.amdhsa_uses_dynamic_stack 0
		.amdhsa_system_sgpr_private_segment_wavefront_offset 1
		.amdhsa_system_sgpr_workgroup_id_x 1
		.amdhsa_system_sgpr_workgroup_id_y 1
		.amdhsa_system_sgpr_workgroup_id_z 0
		.amdhsa_system_sgpr_workgroup_info 0
		.amdhsa_system_vgpr_workitem_id 1
		.amdhsa_next_free_vgpr 100
		.amdhsa_next_free_sgpr 57
		.amdhsa_accum_offset 100
		.amdhsa_reserve_vcc 1
		.amdhsa_reserve_flat_scratch 1
		.amdhsa_float_round_mode_32 0
		.amdhsa_float_round_mode_16_64 0
		.amdhsa_float_denorm_mode_32 3
		.amdhsa_float_denorm_mode_16_64 3
		.amdhsa_dx10_clamp 1
		.amdhsa_ieee_mode 1
		.amdhsa_fp16_overflow 0
		.amdhsa_tg_split 0
		.amdhsa_exception_fp_ieee_invalid_op 0
		.amdhsa_exception_fp_denorm_src 0
		.amdhsa_exception_fp_ieee_div_zero 0
		.amdhsa_exception_fp_ieee_overflow 0
		.amdhsa_exception_fp_ieee_underflow 0
		.amdhsa_exception_fp_ieee_inexact 0
		.amdhsa_exception_int_div_zero 0
	.end_amdhsa_kernel
	.section	.text._ZN9rocsparseL33gebsrmm_large_blockdim_kernel_extILi16ELi16ELi2E21rocsparse_complex_numIdEEEv20rocsparse_direction_20rocsparse_operation_iiNS_24const_host_device_scalarIT2_EEPKiS9_PKS6_iiSB_lS7_PS6_l21rocsparse_index_base_b,"axG",@progbits,_ZN9rocsparseL33gebsrmm_large_blockdim_kernel_extILi16ELi16ELi2E21rocsparse_complex_numIdEEEv20rocsparse_direction_20rocsparse_operation_iiNS_24const_host_device_scalarIT2_EEPKiS9_PKS6_iiSB_lS7_PS6_l21rocsparse_index_base_b,comdat
.Lfunc_end10:
	.size	_ZN9rocsparseL33gebsrmm_large_blockdim_kernel_extILi16ELi16ELi2E21rocsparse_complex_numIdEEEv20rocsparse_direction_20rocsparse_operation_iiNS_24const_host_device_scalarIT2_EEPKiS9_PKS6_iiSB_lS7_PS6_l21rocsparse_index_base_b, .Lfunc_end10-_ZN9rocsparseL33gebsrmm_large_blockdim_kernel_extILi16ELi16ELi2E21rocsparse_complex_numIdEEEv20rocsparse_direction_20rocsparse_operation_iiNS_24const_host_device_scalarIT2_EEPKiS9_PKS6_iiSB_lS7_PS6_l21rocsparse_index_base_b
                                        ; -- End function
	.section	.AMDGPU.csdata,"",@progbits
; Kernel info:
; codeLenInByte = 2800
; NumSgprs: 63
; NumVgprs: 100
; NumAgprs: 0
; TotalNumVgprs: 100
; ScratchSize: 24
; MemoryBound: 0
; FloatMode: 240
; IeeeMode: 1
; LDSByteSize: 12288 bytes/workgroup (compile time only)
; SGPRBlocks: 7
; VGPRBlocks: 12
; NumSGPRsForWavesPerEU: 63
; NumVGPRsForWavesPerEU: 100
; AccumOffset: 100
; Occupancy: 4
; WaveLimiterHint : 1
; COMPUTE_PGM_RSRC2:SCRATCH_EN: 1
; COMPUTE_PGM_RSRC2:USER_SGPR: 8
; COMPUTE_PGM_RSRC2:TRAP_HANDLER: 0
; COMPUTE_PGM_RSRC2:TGID_X_EN: 1
; COMPUTE_PGM_RSRC2:TGID_Y_EN: 1
; COMPUTE_PGM_RSRC2:TGID_Z_EN: 0
; COMPUTE_PGM_RSRC2:TIDIG_COMP_CNT: 1
; COMPUTE_PGM_RSRC3_GFX90A:ACCUM_OFFSET: 24
; COMPUTE_PGM_RSRC3_GFX90A:TG_SPLIT: 0
	.section	.text._ZN9rocsparseL33gebsrmm_large_blockdim_kernel_extILi32ELi32ELi2E21rocsparse_complex_numIdEEEv20rocsparse_direction_20rocsparse_operation_iiNS_24const_host_device_scalarIT2_EEPKiS9_PKS6_iiSB_lS7_PS6_l21rocsparse_index_base_b,"axG",@progbits,_ZN9rocsparseL33gebsrmm_large_blockdim_kernel_extILi32ELi32ELi2E21rocsparse_complex_numIdEEEv20rocsparse_direction_20rocsparse_operation_iiNS_24const_host_device_scalarIT2_EEPKiS9_PKS6_iiSB_lS7_PS6_l21rocsparse_index_base_b,comdat
	.globl	_ZN9rocsparseL33gebsrmm_large_blockdim_kernel_extILi32ELi32ELi2E21rocsparse_complex_numIdEEEv20rocsparse_direction_20rocsparse_operation_iiNS_24const_host_device_scalarIT2_EEPKiS9_PKS6_iiSB_lS7_PS6_l21rocsparse_index_base_b ; -- Begin function _ZN9rocsparseL33gebsrmm_large_blockdim_kernel_extILi32ELi32ELi2E21rocsparse_complex_numIdEEEv20rocsparse_direction_20rocsparse_operation_iiNS_24const_host_device_scalarIT2_EEPKiS9_PKS6_iiSB_lS7_PS6_l21rocsparse_index_base_b
	.p2align	8
	.type	_ZN9rocsparseL33gebsrmm_large_blockdim_kernel_extILi32ELi32ELi2E21rocsparse_complex_numIdEEEv20rocsparse_direction_20rocsparse_operation_iiNS_24const_host_device_scalarIT2_EEPKiS9_PKS6_iiSB_lS7_PS6_l21rocsparse_index_base_b,@function
_ZN9rocsparseL33gebsrmm_large_blockdim_kernel_extILi32ELi32ELi2E21rocsparse_complex_numIdEEEv20rocsparse_direction_20rocsparse_operation_iiNS_24const_host_device_scalarIT2_EEPKiS9_PKS6_iiSB_lS7_PS6_l21rocsparse_index_base_b: ; @_ZN9rocsparseL33gebsrmm_large_blockdim_kernel_extILi32ELi32ELi2E21rocsparse_complex_numIdEEEv20rocsparse_direction_20rocsparse_operation_iiNS_24const_host_device_scalarIT2_EEPKiS9_PKS6_iiSB_lS7_PS6_l21rocsparse_index_base_b
; %bb.0:
	s_load_dwordx2 s[24:25], s[6:7], 0x70
	s_load_dwordx4 s[12:15], s[6:7], 0x10
	s_load_dwordx4 s[16:19], s[6:7], 0x48
	s_mov_b64 s[2:3], src_shared_base
	s_load_dwordx2 s[4:5], s[4:5], 0x4
	s_waitcnt lgkmcnt(0)
	s_bitcmp1_b32 s25, 0
	s_cselect_b64 s[0:1], -1, 0
	s_and_b64 vcc, s[0:1], exec
	s_cselect_b32 s2, s3, s13
	s_lshr_b32 s4, s4, 16
	v_and_b32_e32 v42, 0x3ff, v0
	s_mul_i32 s4, s4, s5
	v_bfe_u32 v2, v0, 10, 10
	v_mul_lo_u32 v1, s4, v42
	v_mad_u32_u24 v1, v2, s5, v1
	v_bfe_u32 v0, v0, 20, 10
	v_add_lshl_u32 v6, v1, v0, 3
	v_mov_b32_e32 v3, s12
	v_add_u32_e32 v7, 0xe000, v6
	v_pk_mov_b32 v[0:1], s[12:13], s[12:13] op_sel:[0,1]
	v_pk_mov_b32 v[4:5], s[18:19], s[18:19] op_sel:[0,1]
	ds_write2st64_b64 v6, v[4:5], v[0:1] offset0:96 offset1:112
	v_cndmask_b32_e64 v0, v3, v7, s[0:1]
	v_mov_b32_e32 v1, s2
	flat_load_dwordx2 v[32:33], v[0:1]
	s_load_dwordx2 s[4:5], s[6:7], 0x58
	s_xor_b64 s[10:11], s[0:1], -1
	v_add_u32_e32 v0, 0xc000, v6
	v_pk_mov_b32 v[34:35], s[14:15], s[14:15] op_sel:[0,1]
	s_cbranch_vccnz .LBB11_2
; %bb.1:
	v_pk_mov_b32 v[4:5], s[12:13], s[12:13] op_sel:[0,1]
	flat_load_dwordx2 v[34:35], v[4:5] offset:8
.LBB11_2:
	s_and_b64 s[12:13], s[0:1], exec
	s_cselect_b32 s2, s3, s19
	v_mov_b32_e32 v1, s18
	v_cndmask_b32_e64 v0, v1, v0, s[0:1]
	v_mov_b32_e32 v1, s2
	flat_load_dwordx2 v[36:37], v[0:1]
	s_andn2_b64 vcc, exec, s[10:11]
	s_waitcnt lgkmcnt(0)
	v_pk_mov_b32 v[38:39], s[4:5], s[4:5] op_sel:[0,1]
	s_cbranch_vccnz .LBB11_4
; %bb.3:
	v_pk_mov_b32 v[0:1], s[18:19], s[18:19] op_sel:[0,1]
	flat_load_dwordx2 v[38:39], v[0:1] offset:8
.LBB11_4:
	s_waitcnt vmcnt(0)
	v_cmp_eq_f64_e32 vcc, 0, v[32:33]
	v_cmp_eq_f64_e64 s[0:1], 0, v[34:35]
	s_and_b64 s[4:5], vcc, s[0:1]
	s_mov_b64 s[0:1], -1
	s_and_saveexec_b64 s[2:3], s[4:5]
	s_cbranch_execz .LBB11_6
; %bb.5:
	v_cmp_neq_f64_e32 vcc, 1.0, v[36:37]
	s_waitcnt lgkmcnt(0)
	v_cmp_neq_f64_e64 s[0:1], 0, v[38:39]
	s_or_b64 s[0:1], vcc, s[0:1]
	s_orn2_b64 s[0:1], s[0:1], exec
.LBB11_6:
	s_or_b64 exec, exec, s[2:3]
	s_and_saveexec_b64 s[2:3], s[0:1]
	s_cbranch_execz .LBB11_58
; %bb.7:
	s_load_dwordx4 s[12:15], s[6:7], 0x0
	s_mov_b32 s30, 0
	s_mov_b32 s25, 0
	s_waitcnt lgkmcnt(0)
	s_cmp_lt_i32 s8, s14
	s_cselect_b64 s[18:19], -1, 0
	s_cmp_ge_i32 s8, s14
	s_cbranch_scc1 .LBB11_9
; %bb.8:
	s_load_dwordx2 s[2:3], s[6:7], 0x20
	s_mov_b32 s0, s9
	s_ashr_i32 s9, s8, 31
	s_lshl_b64 s[4:5], s[8:9], 2
	s_mov_b32 s9, s0
	s_waitcnt lgkmcnt(0)
	s_add_u32 s0, s2, s4
	s_addc_u32 s1, s3, s5
	s_load_dwordx2 s[0:1], s[0:1], 0x0
	s_waitcnt lgkmcnt(0)
	s_sub_i32 s30, s0, s24
	s_sub_i32 s25, s1, s24
.LBB11_9:
	s_load_dwordx2 s[26:27], s[6:7], 0x60
	s_load_dwordx2 s[28:29], s[6:7], 0x38
	v_lshl_add_u32 v48, s9, 6, v2
	v_add_u32_e32 v40, 32, v48
	v_pk_mov_b32 v[44:45], 0, 0
	v_cmp_gt_i32_e64 s[2:3], s15, v48
	v_cmp_gt_i32_e64 s[0:1], s15, v40
	s_waitcnt lgkmcnt(0)
	v_cmp_gt_i32_e64 s[4:5], s28, v42
	s_cmp_ge_i32 s30, s25
	v_pk_mov_b32 v[46:47], v[44:45], v[44:45] op_sel:[0,1]
	v_pk_mov_b32 v[50:51], v[44:45], v[44:45] op_sel:[0,1]
	;; [unrolled: 1-line block ×3, first 2 shown]
	s_cbranch_scc1 .LBB11_47
; %bb.10:
	v_cmp_gt_i32_e32 vcc, s29, v2
	s_and_b64 s[36:37], s[4:5], vcc
	s_cmpk_lg_i32 s13, 0x6f
	s_cselect_b64 s[14:15], -1, 0
	v_lshlrev_b32_e32 v3, 5, v2
	s_cmp_eq_u32 s12, 0
	v_mad_u64_u32 v[0:1], s[12:13], v2, s28, v[42:43]
	v_mad_u64_u32 v[4:5], s[12:13], v42, s29, v[2:3]
	s_cselect_b64 vcc, -1, 0
	s_cmp_gt_i32 s29, 0
	s_cselect_b64 s[12:13], -1, 0
	v_mad_u64_u32 v[6:7], s[38:39], v48, s16, 0
	v_mad_u64_u32 v[8:9], s[38:39], v40, s16, 0
	s_load_dwordx4 s[20:23], s[6:7], 0x28
	s_load_dwordx2 s[34:35], s[6:7], 0x40
	v_lshl_add_u32 v1, v42, 5, v2
	v_mov_b32_e32 v10, 0x8000
	v_ashrrev_i32_e32 v49, 31, v48
	s_and_b64 s[38:39], s[2:3], s[12:13]
	s_and_b64 s[40:41], s[0:1], s[12:13]
	s_and_b32 s33, s29, 7
	v_lshl_add_u32 v43, v1, 4, v10
	v_add_lshl_u32 v62, v3, v42, 4
	v_ashrrev_i32_e32 v41, 31, v40
	v_mul_lo_u32 v1, v48, s17
	v_mul_lo_u32 v3, v49, s16
	s_cmp_gt_u32 s29, 7
	v_add3_u32 v7, v7, v1, v3
	v_mul_lo_u32 v1, v40, s17
	v_mul_lo_u32 v3, v41, s16
	v_cndmask_b32_e32 v64, v0, v4, vcc
	s_cselect_b64 s[44:45], -1, 0
	s_and_b32 s52, s29, 0x7ffffff8
	v_cndmask_b32_e64 v0, 0, 1, s[14:15]
	v_add3_u32 v9, v9, v1, v3
	s_cmp_lg_u32 s33, 0
	v_lshlrev_b32_e32 v65, 9, v2
	v_pk_mov_b32 v[52:53], 0, 0
	v_cmp_ne_u32_e64 s[12:13], 1, v0
	v_cndmask_b32_e64 v0, 0, 1, s[44:45]
	s_mul_i32 s9, s29, s28
	v_cmp_gt_i32_e64 s[10:11], s29, v42
	v_add_u32_e32 v63, 0x4000, v62
	s_cselect_b64 s[42:43], -1, 0
	v_lshl_add_u32 v66, v42, 9, v10
	v_add_u32_e32 v67, 0x4000, v65
	v_lshlrev_b64 v[54:55], 4, v[48:49]
	v_lshlrev_b64 v[56:57], 4, v[40:41]
	v_lshlrev_b64 v[58:59], 4, v[6:7]
	v_lshlrev_b64 v[60:61], 4, v[8:9]
	v_cmp_ne_u32_e64 s[14:15], 1, v0
	v_pk_mov_b32 v[50:51], v[52:53], v[52:53] op_sel:[0,1]
	v_pk_mov_b32 v[46:47], v[52:53], v[52:53] op_sel:[0,1]
	v_pk_mov_b32 v[44:45], v[52:53], v[52:53] op_sel:[0,1]
	s_branch .LBB11_13
.LBB11_11:                              ;   in Loop: Header=BB11_13 Depth=1
	s_or_b64 exec, exec, s[46:47]
.LBB11_12:                              ;   in Loop: Header=BB11_13 Depth=1
	s_or_b64 exec, exec, s[44:45]
	s_add_i32 s30, s30, 1
	s_cmp_ge_i32 s30, s25
	s_barrier
	s_cbranch_scc1 .LBB11_47
.LBB11_13:                              ; =>This Loop Header: Depth=1
                                        ;     Child Loop BB11_34 Depth 2
                                        ;     Child Loop BB11_38 Depth 2
	;; [unrolled: 1-line block ×4, first 2 shown]
	s_and_saveexec_b64 s[44:45], s[10:11]
	s_cbranch_execz .LBB11_28
; %bb.14:                               ;   in Loop: Header=BB11_13 Depth=1
	s_ashr_i32 s31, s30, 31
	s_lshl_b64 s[46:47], s[30:31], 2
	s_waitcnt lgkmcnt(0)
	s_add_u32 s46, s20, s46
	s_addc_u32 s47, s21, s47
	s_load_dword s31, s[46:47], 0x0
	s_and_b64 vcc, exec, s[12:13]
	s_waitcnt lgkmcnt(0)
	s_sub_i32 s31, s31, s24
	s_mul_i32 s31, s31, s29
	v_add_u32_e32 v0, s31, v42
	v_ashrrev_i32_e32 v1, 31, v0
	s_cbranch_vccnz .LBB11_20
; %bb.15:                               ;   in Loop: Header=BB11_13 Depth=1
	v_mul_lo_u32 v4, v1, s16
	v_mul_lo_u32 v5, v0, s17
	v_mad_u64_u32 v[2:3], s[46:47], v0, s16, 0
	v_add3_u32 v3, v3, v5, v4
	v_lshlrev_b64 v[2:3], 4, v[2:3]
	v_mov_b32_e32 v5, s35
	v_add_co_u32_e32 v4, vcc, s34, v2
	v_addc_co_u32_e32 v5, vcc, v5, v3, vcc
	s_and_saveexec_b64 s[46:47], s[2:3]
	s_cbranch_execz .LBB11_17
; %bb.16:                               ;   in Loop: Header=BB11_13 Depth=1
	v_add_co_u32_e32 v2, vcc, v4, v54
	v_addc_co_u32_e32 v3, vcc, v5, v55, vcc
	global_load_dwordx4 v[6:9], v[2:3], off
	s_waitcnt vmcnt(0)
	ds_write2_b64 v62, v[6:7], v[8:9] offset1:1
.LBB11_17:                              ;   in Loop: Header=BB11_13 Depth=1
	s_or_b64 exec, exec, s[46:47]
	s_mov_b64 s[48:49], 0
	s_mov_b64 s[46:47], 0
                                        ; implicit-def: $vgpr2_vgpr3
	s_and_saveexec_b64 s[50:51], s[0:1]
	s_xor_b64 s[50:51], exec, s[50:51]
; %bb.18:                               ;   in Loop: Header=BB11_13 Depth=1
	v_add_co_u32_e32 v2, vcc, v4, v56
	s_mov_b64 s[46:47], exec
	v_addc_co_u32_e32 v3, vcc, v5, v57, vcc
; %bb.19:                               ;   in Loop: Header=BB11_13 Depth=1
	s_or_b64 exec, exec, s[50:51]
	s_and_b64 vcc, exec, s[48:49]
	s_cbranch_vccnz .LBB11_21
	s_branch .LBB11_26
.LBB11_20:                              ;   in Loop: Header=BB11_13 Depth=1
	s_mov_b64 s[46:47], 0
                                        ; implicit-def: $vgpr2_vgpr3
	s_cbranch_execz .LBB11_26
.LBB11_21:                              ;   in Loop: Header=BB11_13 Depth=1
	v_lshlrev_b64 v[0:1], 4, v[0:1]
	v_mov_b32_e32 v2, s35
	v_add_co_u32_e32 v0, vcc, s34, v0
	v_addc_co_u32_e32 v1, vcc, v2, v1, vcc
	s_and_saveexec_b64 s[48:49], s[2:3]
	s_cbranch_execz .LBB11_23
; %bb.22:                               ;   in Loop: Header=BB11_13 Depth=1
	v_add_co_u32_e32 v2, vcc, v0, v58
	v_addc_co_u32_e32 v3, vcc, v1, v59, vcc
	global_load_dwordx4 v[2:5], v[2:3], off
	s_waitcnt vmcnt(0)
	ds_write2_b64 v62, v[2:3], v[4:5] offset1:1
.LBB11_23:                              ;   in Loop: Header=BB11_13 Depth=1
	s_or_b64 exec, exec, s[48:49]
                                        ; implicit-def: $vgpr2_vgpr3
	s_and_saveexec_b64 s[48:49], s[0:1]
; %bb.24:                               ;   in Loop: Header=BB11_13 Depth=1
	v_add_co_u32_e32 v2, vcc, v0, v60
	v_addc_co_u32_e32 v3, vcc, v1, v61, vcc
	s_or_b64 s[46:47], s[46:47], exec
; %bb.25:                               ;   in Loop: Header=BB11_13 Depth=1
	s_or_b64 exec, exec, s[48:49]
.LBB11_26:                              ;   in Loop: Header=BB11_13 Depth=1
	s_and_b64 exec, exec, s[46:47]
	s_cbranch_execz .LBB11_28
; %bb.27:                               ;   in Loop: Header=BB11_13 Depth=1
	global_load_dwordx4 v[0:3], v[2:3], off
	s_waitcnt vmcnt(0)
	ds_write2_b64 v63, v[0:1], v[2:3] offset1:1
.LBB11_28:                              ;   in Loop: Header=BB11_13 Depth=1
	s_or_b64 exec, exec, s[44:45]
	s_and_saveexec_b64 s[44:45], s[36:37]
	s_cbranch_execz .LBB11_30
; %bb.29:                               ;   in Loop: Header=BB11_13 Depth=1
	s_mul_i32 s31, s9, s30
	v_add_u32_e32 v0, s31, v64
	v_ashrrev_i32_e32 v1, 31, v0
	v_lshlrev_b64 v[0:1], 4, v[0:1]
	s_waitcnt lgkmcnt(0)
	v_mov_b32_e32 v2, s23
	v_add_co_u32_e32 v0, vcc, s22, v0
	v_addc_co_u32_e32 v1, vcc, v2, v1, vcc
	global_load_dwordx4 v[0:3], v[0:1], off
	s_waitcnt vmcnt(0)
	ds_write2_b64 v43, v[0:1], v[2:3] offset1:1
.LBB11_30:                              ;   in Loop: Header=BB11_13 Depth=1
	s_or_b64 exec, exec, s[44:45]
	s_waitcnt lgkmcnt(0)
	s_barrier
	s_and_saveexec_b64 s[44:45], s[4:5]
	s_cbranch_execz .LBB11_12
; %bb.31:                               ;   in Loop: Header=BB11_13 Depth=1
	s_and_saveexec_b64 s[46:47], s[38:39]
	s_cbranch_execz .LBB11_39
; %bb.32:                               ;   in Loop: Header=BB11_13 Depth=1
	s_mov_b32 s31, 0
	s_and_b64 vcc, exec, s[14:15]
	s_cbranch_vccnz .LBB11_36
; %bb.33:                               ;   in Loop: Header=BB11_13 Depth=1
	v_mov_b32_e32 v41, v66
	v_mov_b32_e32 v49, v65
.LBB11_34:                              ;   Parent Loop BB11_13 Depth=1
                                        ; =>  This Inner Loop Header: Depth=2
	ds_read_b128 v[12:15], v41
	ds_read_b128 v[8:11], v41 offset:16
	ds_read_b128 v[4:7], v41 offset:32
	;; [unrolled: 1-line block ×3, first 2 shown]
	ds_read_b128 v[28:31], v49
	ds_read_b128 v[24:27], v49 offset:16
	ds_read_b128 v[20:23], v49 offset:32
	;; [unrolled: 1-line block ×11, first 2 shown]
	s_waitcnt lgkmcnt(11)
	v_fmac_f64_e32 v[52:53], v[12:13], v[28:29]
	v_fmac_f64_e32 v[50:51], v[14:15], v[28:29]
	v_fma_f64 v[14:15], -v[14:15], v[30:31], v[52:53]
	v_fmac_f64_e32 v[50:51], v[12:13], v[30:31]
	s_waitcnt lgkmcnt(10)
	v_fmac_f64_e32 v[14:15], v[8:9], v[24:25]
	v_fmac_f64_e32 v[50:51], v[10:11], v[24:25]
	v_fma_f64 v[10:11], -v[10:11], v[26:27], v[14:15]
	v_fmac_f64_e32 v[50:51], v[8:9], v[26:27]
	;; [unrolled: 5-line block ×7, first 2 shown]
	s_add_i32 s31, s31, 8
	s_waitcnt lgkmcnt(0)
	v_fmac_f64_e32 v[0:1], v[88:89], v[96:97]
	v_fmac_f64_e32 v[50:51], v[90:91], v[96:97]
	v_add_u32_e32 v49, 0x80, v49
	v_add_u32_e32 v41, 0x80, v41
	s_cmp_lg_u32 s52, s31
	v_fma_f64 v[52:53], -v[90:91], v[98:99], v[0:1]
	v_fmac_f64_e32 v[50:51], v[88:89], v[98:99]
	s_cbranch_scc1 .LBB11_34
; %bb.35:                               ;   in Loop: Header=BB11_13 Depth=1
	s_mov_b32 s31, s52
.LBB11_36:                              ;   in Loop: Header=BB11_13 Depth=1
	s_andn2_b64 vcc, exec, s[42:43]
	s_cbranch_vccnz .LBB11_39
; %bb.37:                               ;   in Loop: Header=BB11_13 Depth=1
	s_lshl_b32 s31, s31, 4
	v_add_u32_e32 v0, s31, v65
	v_add_u32_e32 v1, s31, v66
	s_mov_b32 s31, s33
.LBB11_38:                              ;   Parent Loop BB11_13 Depth=1
                                        ; =>  This Inner Loop Header: Depth=2
	ds_read_b128 v[2:5], v1
	ds_read_b128 v[6:9], v0
	s_add_i32 s31, s31, -1
	v_add_u32_e32 v0, 16, v0
	v_add_u32_e32 v1, 16, v1
	s_cmp_lg_u32 s31, 0
	s_waitcnt lgkmcnt(0)
	v_fmac_f64_e32 v[52:53], v[2:3], v[6:7]
	v_fmac_f64_e32 v[50:51], v[4:5], v[6:7]
	v_fma_f64 v[52:53], -v[4:5], v[8:9], v[52:53]
	v_fmac_f64_e32 v[50:51], v[2:3], v[8:9]
	s_cbranch_scc1 .LBB11_38
.LBB11_39:                              ;   in Loop: Header=BB11_13 Depth=1
	s_or_b64 exec, exec, s[46:47]
	s_and_saveexec_b64 s[46:47], s[40:41]
	s_cbranch_execz .LBB11_11
; %bb.40:                               ;   in Loop: Header=BB11_13 Depth=1
	s_mov_b32 s31, 0
	s_and_b64 vcc, exec, s[14:15]
	s_cbranch_vccnz .LBB11_44
; %bb.41:                               ;   in Loop: Header=BB11_13 Depth=1
	v_mov_b32_e32 v41, v66
	v_mov_b32_e32 v49, v67
.LBB11_42:                              ;   Parent Loop BB11_13 Depth=1
                                        ; =>  This Inner Loop Header: Depth=2
	ds_read_b128 v[12:15], v41
	ds_read_b128 v[8:11], v41 offset:16
	ds_read_b128 v[4:7], v41 offset:32
	;; [unrolled: 1-line block ×3, first 2 shown]
	ds_read_b128 v[28:31], v49
	ds_read_b128 v[24:27], v49 offset:16
	ds_read_b128 v[20:23], v49 offset:32
	;; [unrolled: 1-line block ×11, first 2 shown]
	s_waitcnt lgkmcnt(11)
	v_fmac_f64_e32 v[46:47], v[12:13], v[28:29]
	v_fmac_f64_e32 v[44:45], v[14:15], v[28:29]
	v_fma_f64 v[14:15], -v[14:15], v[30:31], v[46:47]
	v_fmac_f64_e32 v[44:45], v[12:13], v[30:31]
	s_waitcnt lgkmcnt(10)
	v_fmac_f64_e32 v[14:15], v[8:9], v[24:25]
	v_fmac_f64_e32 v[44:45], v[10:11], v[24:25]
	v_fma_f64 v[10:11], -v[10:11], v[26:27], v[14:15]
	v_fmac_f64_e32 v[44:45], v[8:9], v[26:27]
	;; [unrolled: 5-line block ×7, first 2 shown]
	s_add_i32 s31, s31, 8
	s_waitcnt lgkmcnt(0)
	v_fmac_f64_e32 v[0:1], v[88:89], v[96:97]
	v_fmac_f64_e32 v[44:45], v[90:91], v[96:97]
	v_add_u32_e32 v49, 0x80, v49
	v_add_u32_e32 v41, 0x80, v41
	s_cmp_lg_u32 s52, s31
	v_fma_f64 v[46:47], -v[90:91], v[98:99], v[0:1]
	v_fmac_f64_e32 v[44:45], v[88:89], v[98:99]
	s_cbranch_scc1 .LBB11_42
; %bb.43:                               ;   in Loop: Header=BB11_13 Depth=1
	s_mov_b32 s31, s52
.LBB11_44:                              ;   in Loop: Header=BB11_13 Depth=1
	s_andn2_b64 vcc, exec, s[42:43]
	s_cbranch_vccnz .LBB11_11
; %bb.45:                               ;   in Loop: Header=BB11_13 Depth=1
	s_lshl_b32 s31, s31, 4
	v_add_u32_e32 v0, s31, v67
	v_add_u32_e32 v1, s31, v66
	s_mov_b32 s31, s33
.LBB11_46:                              ;   Parent Loop BB11_13 Depth=1
                                        ; =>  This Inner Loop Header: Depth=2
	ds_read_b128 v[2:5], v1
	ds_read_b128 v[6:9], v0
	s_add_i32 s31, s31, -1
	v_add_u32_e32 v0, 16, v0
	v_add_u32_e32 v1, 16, v1
	s_cmp_lg_u32 s31, 0
	s_waitcnt lgkmcnt(0)
	v_fmac_f64_e32 v[46:47], v[2:3], v[6:7]
	v_fmac_f64_e32 v[44:45], v[4:5], v[6:7]
	v_fma_f64 v[46:47], -v[4:5], v[8:9], v[46:47]
	v_fmac_f64_e32 v[44:45], v[2:3], v[8:9]
	s_cbranch_scc1 .LBB11_46
	s_branch .LBB11_11
.LBB11_47:
	s_and_b64 s[4:5], s[18:19], s[4:5]
	s_and_b64 exec, exec, s[4:5]
	s_cbranch_execz .LBB11_58
; %bb.48:
	s_mul_i32 s4, s8, s28
	v_add_u32_e32 v0, s4, v42
	s_load_dwordx2 s[6:7], s[6:7], 0x68
	v_ashrrev_i32_e32 v1, 31, v0
	v_cmp_neq_f64_e32 vcc, 0, v[36:37]
	v_cmp_neq_f64_e64 s[4:5], 0, v[38:39]
	v_lshlrev_b64 v[0:1], 4, v[0:1]
	s_or_b64 s[4:5], vcc, s[4:5]
	v_mov_b32_e32 v2, s27
	v_add_co_u32_e32 v0, vcc, s26, v0
	v_addc_co_u32_e32 v1, vcc, v2, v1, vcc
	s_and_saveexec_b64 s[8:9], s[2:3]
	s_cbranch_execz .LBB11_53
; %bb.49:
	s_and_saveexec_b64 s[2:3], s[4:5]
	s_xor_b64 s[2:3], exec, s[2:3]
	s_cbranch_execz .LBB11_51
; %bb.50:
	v_ashrrev_i32_e32 v2, 31, v48
	s_waitcnt lgkmcnt(0)
	v_mul_lo_u32 v4, v48, s7
	v_mul_lo_u32 v5, v2, s6
	v_mad_u64_u32 v[2:3], s[10:11], v48, s6, 0
	v_add3_u32 v3, v3, v4, v5
	v_lshlrev_b64 v[2:3], 4, v[2:3]
	v_add_co_u32_e32 v10, vcc, v0, v2
	v_addc_co_u32_e32 v11, vcc, v1, v3, vcc
	global_load_dwordx4 v[2:5], v[10:11], off
	v_mul_f64 v[6:7], v[50:51], -v[34:35]
	v_mul_f64 v[8:9], v[32:33], v[50:51]
	v_fmac_f64_e32 v[6:7], v[32:33], v[52:53]
	v_fmac_f64_e32 v[8:9], v[34:35], v[52:53]
                                        ; implicit-def: $vgpr50_vgpr51
                                        ; implicit-def: $vgpr52_vgpr53
                                        ; implicit-def: $vgpr48
	s_waitcnt vmcnt(0)
	v_fmac_f64_e32 v[6:7], v[36:37], v[2:3]
	v_fmac_f64_e32 v[8:9], v[38:39], v[2:3]
	v_fma_f64 v[6:7], -v[38:39], v[4:5], v[6:7]
	v_fmac_f64_e32 v[8:9], v[36:37], v[4:5]
	global_store_dwordx4 v[10:11], v[6:9], off
.LBB11_51:
	s_andn2_saveexec_b64 s[2:3], s[2:3]
	s_cbranch_execz .LBB11_53
; %bb.52:
	v_ashrrev_i32_e32 v6, 31, v48
	s_waitcnt lgkmcnt(0)
	v_mul_lo_u32 v8, v48, s7
	v_mul_lo_u32 v9, v6, s6
	v_mad_u64_u32 v[6:7], s[2:3], v48, s6, 0
	v_add3_u32 v7, v7, v8, v9
	v_lshlrev_b64 v[6:7], 4, v[6:7]
	v_mul_f64 v[2:3], v[50:51], -v[34:35]
	v_mul_f64 v[4:5], v[32:33], v[50:51]
	v_add_co_u32_e32 v6, vcc, v0, v6
	v_fmac_f64_e32 v[2:3], v[32:33], v[52:53]
	v_fmac_f64_e32 v[4:5], v[34:35], v[52:53]
	v_addc_co_u32_e32 v7, vcc, v1, v7, vcc
	global_store_dwordx4 v[6:7], v[2:5], off
.LBB11_53:
	s_or_b64 exec, exec, s[8:9]
	s_and_b64 exec, exec, s[0:1]
	s_cbranch_execz .LBB11_58
; %bb.54:
	s_and_saveexec_b64 s[0:1], s[4:5]
	s_xor_b64 s[0:1], exec, s[0:1]
	s_cbranch_execz .LBB11_56
; %bb.55:
	v_ashrrev_i32_e32 v2, 31, v40
	s_waitcnt lgkmcnt(0)
	v_mul_lo_u32 v4, v40, s7
	v_mul_lo_u32 v5, v2, s6
	v_mad_u64_u32 v[2:3], s[2:3], v40, s6, 0
	v_add3_u32 v3, v3, v4, v5
	v_lshlrev_b64 v[2:3], 4, v[2:3]
	v_add_co_u32_e32 v8, vcc, v0, v2
	v_addc_co_u32_e32 v9, vcc, v1, v3, vcc
	global_load_dwordx4 v[0:3], v[8:9], off
	v_mul_f64 v[4:5], v[44:45], -v[34:35]
	v_mul_f64 v[6:7], v[32:33], v[44:45]
	v_fmac_f64_e32 v[4:5], v[32:33], v[46:47]
	v_fmac_f64_e32 v[6:7], v[34:35], v[46:47]
                                        ; implicit-def: $vgpr44_vgpr45
                                        ; implicit-def: $vgpr34_vgpr35
                                        ; implicit-def: $vgpr32_vgpr33
                                        ; implicit-def: $vgpr46_vgpr47
                                        ; implicit-def: $vgpr40
	s_waitcnt vmcnt(0)
	v_fmac_f64_e32 v[4:5], v[36:37], v[0:1]
	v_fmac_f64_e32 v[6:7], v[38:39], v[0:1]
	v_fma_f64 v[4:5], -v[38:39], v[2:3], v[4:5]
	v_fmac_f64_e32 v[6:7], v[36:37], v[2:3]
	global_store_dwordx4 v[8:9], v[4:7], off
                                        ; implicit-def: $vgpr0
                                        ; implicit-def: $vgpr1
.LBB11_56:
	s_andn2_saveexec_b64 s[0:1], s[0:1]
	s_cbranch_execz .LBB11_58
; %bb.57:
	v_ashrrev_i32_e32 v6, 31, v40
	s_waitcnt lgkmcnt(0)
	v_mul_lo_u32 v8, v40, s7
	v_mul_lo_u32 v9, v6, s6
	v_mad_u64_u32 v[6:7], s[0:1], v40, s6, 0
	v_add3_u32 v7, v7, v8, v9
	v_lshlrev_b64 v[6:7], 4, v[6:7]
	v_mul_f64 v[2:3], v[44:45], -v[34:35]
	v_mul_f64 v[4:5], v[32:33], v[44:45]
	v_add_co_u32_e32 v0, vcc, v0, v6
	v_fmac_f64_e32 v[2:3], v[32:33], v[46:47]
	v_fmac_f64_e32 v[4:5], v[34:35], v[46:47]
	v_addc_co_u32_e32 v1, vcc, v1, v7, vcc
	global_store_dwordx4 v[0:1], v[2:5], off
.LBB11_58:
	s_endpgm
	.section	.rodata,"a",@progbits
	.p2align	6, 0x0
	.amdhsa_kernel _ZN9rocsparseL33gebsrmm_large_blockdim_kernel_extILi32ELi32ELi2E21rocsparse_complex_numIdEEEv20rocsparse_direction_20rocsparse_operation_iiNS_24const_host_device_scalarIT2_EEPKiS9_PKS6_iiSB_lS7_PS6_l21rocsparse_index_base_b
		.amdhsa_group_segment_fixed_size 65536
		.amdhsa_private_segment_fixed_size 0
		.amdhsa_kernarg_size 120
		.amdhsa_user_sgpr_count 8
		.amdhsa_user_sgpr_private_segment_buffer 1
		.amdhsa_user_sgpr_dispatch_ptr 1
		.amdhsa_user_sgpr_queue_ptr 0
		.amdhsa_user_sgpr_kernarg_segment_ptr 1
		.amdhsa_user_sgpr_dispatch_id 0
		.amdhsa_user_sgpr_flat_scratch_init 0
		.amdhsa_user_sgpr_kernarg_preload_length 0
		.amdhsa_user_sgpr_kernarg_preload_offset 0
		.amdhsa_user_sgpr_private_segment_size 0
		.amdhsa_uses_dynamic_stack 0
		.amdhsa_system_sgpr_private_segment_wavefront_offset 0
		.amdhsa_system_sgpr_workgroup_id_x 1
		.amdhsa_system_sgpr_workgroup_id_y 1
		.amdhsa_system_sgpr_workgroup_id_z 0
		.amdhsa_system_sgpr_workgroup_info 0
		.amdhsa_system_vgpr_workitem_id 2
		.amdhsa_next_free_vgpr 100
		.amdhsa_next_free_sgpr 53
		.amdhsa_accum_offset 100
		.amdhsa_reserve_vcc 1
		.amdhsa_reserve_flat_scratch 0
		.amdhsa_float_round_mode_32 0
		.amdhsa_float_round_mode_16_64 0
		.amdhsa_float_denorm_mode_32 3
		.amdhsa_float_denorm_mode_16_64 3
		.amdhsa_dx10_clamp 1
		.amdhsa_ieee_mode 1
		.amdhsa_fp16_overflow 0
		.amdhsa_tg_split 0
		.amdhsa_exception_fp_ieee_invalid_op 0
		.amdhsa_exception_fp_denorm_src 0
		.amdhsa_exception_fp_ieee_div_zero 0
		.amdhsa_exception_fp_ieee_overflow 0
		.amdhsa_exception_fp_ieee_underflow 0
		.amdhsa_exception_fp_ieee_inexact 0
		.amdhsa_exception_int_div_zero 0
	.end_amdhsa_kernel
	.section	.text._ZN9rocsparseL33gebsrmm_large_blockdim_kernel_extILi32ELi32ELi2E21rocsparse_complex_numIdEEEv20rocsparse_direction_20rocsparse_operation_iiNS_24const_host_device_scalarIT2_EEPKiS9_PKS6_iiSB_lS7_PS6_l21rocsparse_index_base_b,"axG",@progbits,_ZN9rocsparseL33gebsrmm_large_blockdim_kernel_extILi32ELi32ELi2E21rocsparse_complex_numIdEEEv20rocsparse_direction_20rocsparse_operation_iiNS_24const_host_device_scalarIT2_EEPKiS9_PKS6_iiSB_lS7_PS6_l21rocsparse_index_base_b,comdat
.Lfunc_end11:
	.size	_ZN9rocsparseL33gebsrmm_large_blockdim_kernel_extILi32ELi32ELi2E21rocsparse_complex_numIdEEEv20rocsparse_direction_20rocsparse_operation_iiNS_24const_host_device_scalarIT2_EEPKiS9_PKS6_iiSB_lS7_PS6_l21rocsparse_index_base_b, .Lfunc_end11-_ZN9rocsparseL33gebsrmm_large_blockdim_kernel_extILi32ELi32ELi2E21rocsparse_complex_numIdEEEv20rocsparse_direction_20rocsparse_operation_iiNS_24const_host_device_scalarIT2_EEPKiS9_PKS6_iiSB_lS7_PS6_l21rocsparse_index_base_b
                                        ; -- End function
	.section	.AMDGPU.csdata,"",@progbits
; Kernel info:
; codeLenInByte = 2804
; NumSgprs: 57
; NumVgprs: 100
; NumAgprs: 0
; TotalNumVgprs: 100
; ScratchSize: 0
; MemoryBound: 0
; FloatMode: 240
; IeeeMode: 1
; LDSByteSize: 65536 bytes/workgroup (compile time only)
; SGPRBlocks: 7
; VGPRBlocks: 12
; NumSGPRsForWavesPerEU: 57
; NumVGPRsForWavesPerEU: 100
; AccumOffset: 100
; Occupancy: 4
; WaveLimiterHint : 0
; COMPUTE_PGM_RSRC2:SCRATCH_EN: 0
; COMPUTE_PGM_RSRC2:USER_SGPR: 8
; COMPUTE_PGM_RSRC2:TRAP_HANDLER: 0
; COMPUTE_PGM_RSRC2:TGID_X_EN: 1
; COMPUTE_PGM_RSRC2:TGID_Y_EN: 1
; COMPUTE_PGM_RSRC2:TGID_Z_EN: 0
; COMPUTE_PGM_RSRC2:TIDIG_COMP_CNT: 2
; COMPUTE_PGM_RSRC3_GFX90A:ACCUM_OFFSET: 24
; COMPUTE_PGM_RSRC3_GFX90A:TG_SPLIT: 0
	.text
	.p2alignl 6, 3212836864
	.fill 256, 4, 3212836864
	.type	__hip_cuid_30f4fa97399176c5,@object ; @__hip_cuid_30f4fa97399176c5
	.section	.bss,"aw",@nobits
	.globl	__hip_cuid_30f4fa97399176c5
__hip_cuid_30f4fa97399176c5:
	.byte	0                               ; 0x0
	.size	__hip_cuid_30f4fa97399176c5, 1

	.ident	"AMD clang version 19.0.0git (https://github.com/RadeonOpenCompute/llvm-project roc-6.4.0 25133 c7fe45cf4b819c5991fe208aaa96edf142730f1d)"
	.section	".note.GNU-stack","",@progbits
	.addrsig
	.addrsig_sym __hip_cuid_30f4fa97399176c5
	.amdgpu_metadata
---
amdhsa.kernels:
  - .agpr_count:     0
    .args:
      - .offset:         0
        .size:           4
        .value_kind:     by_value
      - .offset:         4
        .size:           4
        .value_kind:     by_value
      - .offset:         8
        .size:           4
        .value_kind:     by_value
      - .offset:         12
        .size:           4
        .value_kind:     by_value
      - .offset:         16
        .size:           8
        .value_kind:     by_value
      - .actual_access:  read_only
        .address_space:  global
        .offset:         24
        .size:           8
        .value_kind:     global_buffer
      - .actual_access:  read_only
        .address_space:  global
        .offset:         32
        .size:           8
        .value_kind:     global_buffer
      - .actual_access:  read_only
        .address_space:  global
        .offset:         40
        .size:           8
        .value_kind:     global_buffer
      - .offset:         48
        .size:           4
        .value_kind:     by_value
      - .offset:         52
        .size:           4
        .value_kind:     by_value
      - .actual_access:  read_only
        .address_space:  global
        .offset:         56
        .size:           8
        .value_kind:     global_buffer
      - .offset:         64
        .size:           8
        .value_kind:     by_value
      - .offset:         72
        .size:           8
        .value_kind:     by_value
      - .address_space:  global
        .offset:         80
        .size:           8
        .value_kind:     global_buffer
      - .offset:         88
        .size:           8
        .value_kind:     by_value
      - .offset:         96
        .size:           4
        .value_kind:     by_value
      - .offset:         100
        .size:           1
        .value_kind:     by_value
    .group_segment_fixed_size: 768
    .kernarg_segment_align: 8
    .kernarg_segment_size: 104
    .language:       OpenCL C
    .language_version:
      - 2
      - 0
    .max_flat_workgroup_size: 64
    .name:           _ZN9rocsparseL33gebsrmm_large_blockdim_kernel_extILi8ELi8ELi2EfEEv20rocsparse_direction_20rocsparse_operation_iiNS_24const_host_device_scalarIT2_EEPKiS7_PKS4_iiS9_lS5_PS4_l21rocsparse_index_base_b
    .private_segment_fixed_size: 0
    .sgpr_count:     60
    .sgpr_spill_count: 0
    .symbol:         _ZN9rocsparseL33gebsrmm_large_blockdim_kernel_extILi8ELi8ELi2EfEEv20rocsparse_direction_20rocsparse_operation_iiNS_24const_host_device_scalarIT2_EEPKiS7_PKS4_iiS9_lS5_PS4_l21rocsparse_index_base_b.kd
    .uniform_work_group_size: 1
    .uses_dynamic_stack: false
    .vgpr_count:     38
    .vgpr_spill_count: 0
    .wavefront_size: 64
  - .agpr_count:     0
    .args:
      - .offset:         0
        .size:           4
        .value_kind:     by_value
      - .offset:         4
        .size:           4
        .value_kind:     by_value
      - .offset:         8
        .size:           4
        .value_kind:     by_value
      - .offset:         12
        .size:           4
        .value_kind:     by_value
      - .offset:         16
        .size:           8
        .value_kind:     by_value
      - .actual_access:  read_only
        .address_space:  global
        .offset:         24
        .size:           8
        .value_kind:     global_buffer
      - .actual_access:  read_only
        .address_space:  global
        .offset:         32
        .size:           8
        .value_kind:     global_buffer
      - .actual_access:  read_only
        .address_space:  global
        .offset:         40
        .size:           8
        .value_kind:     global_buffer
      - .offset:         48
        .size:           4
        .value_kind:     by_value
      - .offset:         52
        .size:           4
        .value_kind:     by_value
      - .actual_access:  read_only
        .address_space:  global
        .offset:         56
        .size:           8
        .value_kind:     global_buffer
      - .offset:         64
        .size:           8
        .value_kind:     by_value
      - .offset:         72
        .size:           8
        .value_kind:     by_value
      - .address_space:  global
        .offset:         80
        .size:           8
        .value_kind:     global_buffer
      - .offset:         88
        .size:           8
        .value_kind:     by_value
      - .offset:         96
        .size:           4
        .value_kind:     by_value
      - .offset:         100
        .size:           1
        .value_kind:     by_value
    .group_segment_fixed_size: 3072
    .kernarg_segment_align: 8
    .kernarg_segment_size: 104
    .language:       OpenCL C
    .language_version:
      - 2
      - 0
    .max_flat_workgroup_size: 256
    .name:           _ZN9rocsparseL33gebsrmm_large_blockdim_kernel_extILi16ELi16ELi2EfEEv20rocsparse_direction_20rocsparse_operation_iiNS_24const_host_device_scalarIT2_EEPKiS7_PKS4_iiS9_lS5_PS4_l21rocsparse_index_base_b
    .private_segment_fixed_size: 0
    .sgpr_count:     60
    .sgpr_spill_count: 0
    .symbol:         _ZN9rocsparseL33gebsrmm_large_blockdim_kernel_extILi16ELi16ELi2EfEEv20rocsparse_direction_20rocsparse_operation_iiNS_24const_host_device_scalarIT2_EEPKiS7_PKS4_iiS9_lS5_PS4_l21rocsparse_index_base_b.kd
    .uniform_work_group_size: 1
    .uses_dynamic_stack: false
    .vgpr_count:     38
    .vgpr_spill_count: 0
    .wavefront_size: 64
  - .agpr_count:     0
    .args:
      - .offset:         0
        .size:           4
        .value_kind:     by_value
      - .offset:         4
        .size:           4
        .value_kind:     by_value
      - .offset:         8
        .size:           4
        .value_kind:     by_value
      - .offset:         12
        .size:           4
        .value_kind:     by_value
      - .offset:         16
        .size:           8
        .value_kind:     by_value
      - .actual_access:  read_only
        .address_space:  global
        .offset:         24
        .size:           8
        .value_kind:     global_buffer
      - .actual_access:  read_only
        .address_space:  global
        .offset:         32
        .size:           8
        .value_kind:     global_buffer
      - .actual_access:  read_only
        .address_space:  global
        .offset:         40
        .size:           8
        .value_kind:     global_buffer
      - .offset:         48
        .size:           4
        .value_kind:     by_value
      - .offset:         52
        .size:           4
        .value_kind:     by_value
      - .actual_access:  read_only
        .address_space:  global
        .offset:         56
        .size:           8
        .value_kind:     global_buffer
      - .offset:         64
        .size:           8
        .value_kind:     by_value
      - .offset:         72
        .size:           8
        .value_kind:     by_value
      - .address_space:  global
        .offset:         80
        .size:           8
        .value_kind:     global_buffer
      - .offset:         88
        .size:           8
        .value_kind:     by_value
      - .offset:         96
        .size:           4
        .value_kind:     by_value
      - .offset:         100
        .size:           1
        .value_kind:     by_value
    .group_segment_fixed_size: 12288
    .kernarg_segment_align: 8
    .kernarg_segment_size: 104
    .language:       OpenCL C
    .language_version:
      - 2
      - 0
    .max_flat_workgroup_size: 1024
    .name:           _ZN9rocsparseL33gebsrmm_large_blockdim_kernel_extILi32ELi32ELi2EfEEv20rocsparse_direction_20rocsparse_operation_iiNS_24const_host_device_scalarIT2_EEPKiS7_PKS4_iiS9_lS5_PS4_l21rocsparse_index_base_b
    .private_segment_fixed_size: 0
    .sgpr_count:     60
    .sgpr_spill_count: 0
    .symbol:         _ZN9rocsparseL33gebsrmm_large_blockdim_kernel_extILi32ELi32ELi2EfEEv20rocsparse_direction_20rocsparse_operation_iiNS_24const_host_device_scalarIT2_EEPKiS7_PKS4_iiS9_lS5_PS4_l21rocsparse_index_base_b.kd
    .uniform_work_group_size: 1
    .uses_dynamic_stack: false
    .vgpr_count:     38
    .vgpr_spill_count: 0
    .wavefront_size: 64
  - .agpr_count:     0
    .args:
      - .offset:         0
        .size:           4
        .value_kind:     by_value
      - .offset:         4
        .size:           4
        .value_kind:     by_value
      - .offset:         8
        .size:           4
        .value_kind:     by_value
      - .offset:         12
        .size:           4
        .value_kind:     by_value
      - .offset:         16
        .size:           8
        .value_kind:     by_value
      - .actual_access:  read_only
        .address_space:  global
        .offset:         24
        .size:           8
        .value_kind:     global_buffer
      - .actual_access:  read_only
        .address_space:  global
        .offset:         32
        .size:           8
        .value_kind:     global_buffer
      - .actual_access:  read_only
        .address_space:  global
        .offset:         40
        .size:           8
        .value_kind:     global_buffer
      - .offset:         48
        .size:           4
        .value_kind:     by_value
      - .offset:         52
        .size:           4
        .value_kind:     by_value
      - .actual_access:  read_only
        .address_space:  global
        .offset:         56
        .size:           8
        .value_kind:     global_buffer
      - .offset:         64
        .size:           8
        .value_kind:     by_value
      - .offset:         72
        .size:           8
        .value_kind:     by_value
      - .address_space:  global
        .offset:         80
        .size:           8
        .value_kind:     global_buffer
      - .offset:         88
        .size:           8
        .value_kind:     by_value
      - .offset:         96
        .size:           4
        .value_kind:     by_value
      - .offset:         100
        .size:           1
        .value_kind:     by_value
    .group_segment_fixed_size: 1536
    .kernarg_segment_align: 8
    .kernarg_segment_size: 104
    .language:       OpenCL C
    .language_version:
      - 2
      - 0
    .max_flat_workgroup_size: 64
    .name:           _ZN9rocsparseL33gebsrmm_large_blockdim_kernel_extILi8ELi8ELi2EdEEv20rocsparse_direction_20rocsparse_operation_iiNS_24const_host_device_scalarIT2_EEPKiS7_PKS4_iiS9_lS5_PS4_l21rocsparse_index_base_b
    .private_segment_fixed_size: 0
    .sgpr_count:     57
    .sgpr_spill_count: 0
    .symbol:         _ZN9rocsparseL33gebsrmm_large_blockdim_kernel_extILi8ELi8ELi2EdEEv20rocsparse_direction_20rocsparse_operation_iiNS_24const_host_device_scalarIT2_EEPKiS7_PKS4_iiS9_lS5_PS4_l21rocsparse_index_base_b.kd
    .uniform_work_group_size: 1
    .uses_dynamic_stack: false
    .vgpr_count:     60
    .vgpr_spill_count: 0
    .wavefront_size: 64
  - .agpr_count:     0
    .args:
      - .offset:         0
        .size:           4
        .value_kind:     by_value
      - .offset:         4
        .size:           4
        .value_kind:     by_value
      - .offset:         8
        .size:           4
        .value_kind:     by_value
      - .offset:         12
        .size:           4
        .value_kind:     by_value
      - .offset:         16
        .size:           8
        .value_kind:     by_value
      - .actual_access:  read_only
        .address_space:  global
        .offset:         24
        .size:           8
        .value_kind:     global_buffer
      - .actual_access:  read_only
        .address_space:  global
        .offset:         32
        .size:           8
        .value_kind:     global_buffer
      - .actual_access:  read_only
        .address_space:  global
        .offset:         40
        .size:           8
        .value_kind:     global_buffer
      - .offset:         48
        .size:           4
        .value_kind:     by_value
      - .offset:         52
        .size:           4
        .value_kind:     by_value
      - .actual_access:  read_only
        .address_space:  global
        .offset:         56
        .size:           8
        .value_kind:     global_buffer
      - .offset:         64
        .size:           8
        .value_kind:     by_value
      - .offset:         72
        .size:           8
        .value_kind:     by_value
      - .address_space:  global
        .offset:         80
        .size:           8
        .value_kind:     global_buffer
      - .offset:         88
        .size:           8
        .value_kind:     by_value
      - .offset:         96
        .size:           4
        .value_kind:     by_value
      - .offset:         100
        .size:           1
        .value_kind:     by_value
    .group_segment_fixed_size: 6144
    .kernarg_segment_align: 8
    .kernarg_segment_size: 104
    .language:       OpenCL C
    .language_version:
      - 2
      - 0
    .max_flat_workgroup_size: 256
    .name:           _ZN9rocsparseL33gebsrmm_large_blockdim_kernel_extILi16ELi16ELi2EdEEv20rocsparse_direction_20rocsparse_operation_iiNS_24const_host_device_scalarIT2_EEPKiS7_PKS4_iiS9_lS5_PS4_l21rocsparse_index_base_b
    .private_segment_fixed_size: 0
    .sgpr_count:     57
    .sgpr_spill_count: 0
    .symbol:         _ZN9rocsparseL33gebsrmm_large_blockdim_kernel_extILi16ELi16ELi2EdEEv20rocsparse_direction_20rocsparse_operation_iiNS_24const_host_device_scalarIT2_EEPKiS7_PKS4_iiS9_lS5_PS4_l21rocsparse_index_base_b.kd
    .uniform_work_group_size: 1
    .uses_dynamic_stack: false
    .vgpr_count:     60
    .vgpr_spill_count: 0
    .wavefront_size: 64
  - .agpr_count:     0
    .args:
      - .offset:         0
        .size:           4
        .value_kind:     by_value
      - .offset:         4
        .size:           4
        .value_kind:     by_value
      - .offset:         8
        .size:           4
        .value_kind:     by_value
      - .offset:         12
        .size:           4
        .value_kind:     by_value
      - .offset:         16
        .size:           8
        .value_kind:     by_value
      - .actual_access:  read_only
        .address_space:  global
        .offset:         24
        .size:           8
        .value_kind:     global_buffer
      - .actual_access:  read_only
        .address_space:  global
        .offset:         32
        .size:           8
        .value_kind:     global_buffer
      - .actual_access:  read_only
        .address_space:  global
        .offset:         40
        .size:           8
        .value_kind:     global_buffer
      - .offset:         48
        .size:           4
        .value_kind:     by_value
      - .offset:         52
        .size:           4
        .value_kind:     by_value
      - .actual_access:  read_only
        .address_space:  global
        .offset:         56
        .size:           8
        .value_kind:     global_buffer
      - .offset:         64
        .size:           8
        .value_kind:     by_value
      - .offset:         72
        .size:           8
        .value_kind:     by_value
      - .address_space:  global
        .offset:         80
        .size:           8
        .value_kind:     global_buffer
      - .offset:         88
        .size:           8
        .value_kind:     by_value
      - .offset:         96
        .size:           4
        .value_kind:     by_value
      - .offset:         100
        .size:           1
        .value_kind:     by_value
    .group_segment_fixed_size: 24576
    .kernarg_segment_align: 8
    .kernarg_segment_size: 104
    .language:       OpenCL C
    .language_version:
      - 2
      - 0
    .max_flat_workgroup_size: 1024
    .name:           _ZN9rocsparseL33gebsrmm_large_blockdim_kernel_extILi32ELi32ELi2EdEEv20rocsparse_direction_20rocsparse_operation_iiNS_24const_host_device_scalarIT2_EEPKiS7_PKS4_iiS9_lS5_PS4_l21rocsparse_index_base_b
    .private_segment_fixed_size: 0
    .sgpr_count:     57
    .sgpr_spill_count: 0
    .symbol:         _ZN9rocsparseL33gebsrmm_large_blockdim_kernel_extILi32ELi32ELi2EdEEv20rocsparse_direction_20rocsparse_operation_iiNS_24const_host_device_scalarIT2_EEPKiS7_PKS4_iiS9_lS5_PS4_l21rocsparse_index_base_b.kd
    .uniform_work_group_size: 1
    .uses_dynamic_stack: false
    .vgpr_count:     60
    .vgpr_spill_count: 0
    .wavefront_size: 64
  - .agpr_count:     0
    .args:
      - .offset:         0
        .size:           4
        .value_kind:     by_value
      - .offset:         4
        .size:           4
        .value_kind:     by_value
      - .offset:         8
        .size:           4
        .value_kind:     by_value
      - .offset:         12
        .size:           4
        .value_kind:     by_value
      - .offset:         16
        .size:           8
        .value_kind:     by_value
      - .actual_access:  read_only
        .address_space:  global
        .offset:         24
        .size:           8
        .value_kind:     global_buffer
      - .actual_access:  read_only
        .address_space:  global
        .offset:         32
        .size:           8
        .value_kind:     global_buffer
      - .actual_access:  read_only
        .address_space:  global
        .offset:         40
        .size:           8
        .value_kind:     global_buffer
      - .offset:         48
        .size:           4
        .value_kind:     by_value
      - .offset:         52
        .size:           4
        .value_kind:     by_value
      - .actual_access:  read_only
        .address_space:  global
        .offset:         56
        .size:           8
        .value_kind:     global_buffer
      - .offset:         64
        .size:           8
        .value_kind:     by_value
      - .offset:         72
        .size:           8
        .value_kind:     by_value
      - .address_space:  global
        .offset:         80
        .size:           8
        .value_kind:     global_buffer
      - .offset:         88
        .size:           8
        .value_kind:     by_value
      - .offset:         96
        .size:           4
        .value_kind:     by_value
      - .offset:         100
        .size:           1
        .value_kind:     by_value
    .group_segment_fixed_size: 1536
    .kernarg_segment_align: 8
    .kernarg_segment_size: 104
    .language:       OpenCL C
    .language_version:
      - 2
      - 0
    .max_flat_workgroup_size: 64
    .name:           _ZN9rocsparseL33gebsrmm_large_blockdim_kernel_extILi8ELi8ELi2E21rocsparse_complex_numIfEEEv20rocsparse_direction_20rocsparse_operation_iiNS_24const_host_device_scalarIT2_EEPKiS9_PKS6_iiSB_lS7_PS6_l21rocsparse_index_base_b
    .private_segment_fixed_size: 0
    .sgpr_count:     57
    .sgpr_spill_count: 0
    .symbol:         _ZN9rocsparseL33gebsrmm_large_blockdim_kernel_extILi8ELi8ELi2E21rocsparse_complex_numIfEEEv20rocsparse_direction_20rocsparse_operation_iiNS_24const_host_device_scalarIT2_EEPKiS9_PKS6_iiSB_lS7_PS6_l21rocsparse_index_base_b.kd
    .uniform_work_group_size: 1
    .uses_dynamic_stack: false
    .vgpr_count:     76
    .vgpr_spill_count: 0
    .wavefront_size: 64
  - .agpr_count:     0
    .args:
      - .offset:         0
        .size:           4
        .value_kind:     by_value
      - .offset:         4
        .size:           4
        .value_kind:     by_value
      - .offset:         8
        .size:           4
        .value_kind:     by_value
      - .offset:         12
        .size:           4
        .value_kind:     by_value
      - .offset:         16
        .size:           8
        .value_kind:     by_value
      - .actual_access:  read_only
        .address_space:  global
        .offset:         24
        .size:           8
        .value_kind:     global_buffer
      - .actual_access:  read_only
        .address_space:  global
        .offset:         32
        .size:           8
        .value_kind:     global_buffer
      - .actual_access:  read_only
        .address_space:  global
        .offset:         40
        .size:           8
        .value_kind:     global_buffer
      - .offset:         48
        .size:           4
        .value_kind:     by_value
      - .offset:         52
        .size:           4
        .value_kind:     by_value
      - .actual_access:  read_only
        .address_space:  global
        .offset:         56
        .size:           8
        .value_kind:     global_buffer
      - .offset:         64
        .size:           8
        .value_kind:     by_value
      - .offset:         72
        .size:           8
        .value_kind:     by_value
      - .address_space:  global
        .offset:         80
        .size:           8
        .value_kind:     global_buffer
      - .offset:         88
        .size:           8
        .value_kind:     by_value
      - .offset:         96
        .size:           4
        .value_kind:     by_value
      - .offset:         100
        .size:           1
        .value_kind:     by_value
    .group_segment_fixed_size: 6144
    .kernarg_segment_align: 8
    .kernarg_segment_size: 104
    .language:       OpenCL C
    .language_version:
      - 2
      - 0
    .max_flat_workgroup_size: 256
    .name:           _ZN9rocsparseL33gebsrmm_large_blockdim_kernel_extILi16ELi16ELi2E21rocsparse_complex_numIfEEEv20rocsparse_direction_20rocsparse_operation_iiNS_24const_host_device_scalarIT2_EEPKiS9_PKS6_iiSB_lS7_PS6_l21rocsparse_index_base_b
    .private_segment_fixed_size: 0
    .sgpr_count:     57
    .sgpr_spill_count: 0
    .symbol:         _ZN9rocsparseL33gebsrmm_large_blockdim_kernel_extILi16ELi16ELi2E21rocsparse_complex_numIfEEEv20rocsparse_direction_20rocsparse_operation_iiNS_24const_host_device_scalarIT2_EEPKiS9_PKS6_iiSB_lS7_PS6_l21rocsparse_index_base_b.kd
    .uniform_work_group_size: 1
    .uses_dynamic_stack: false
    .vgpr_count:     76
    .vgpr_spill_count: 0
    .wavefront_size: 64
  - .agpr_count:     0
    .args:
      - .offset:         0
        .size:           4
        .value_kind:     by_value
      - .offset:         4
        .size:           4
        .value_kind:     by_value
      - .offset:         8
        .size:           4
        .value_kind:     by_value
      - .offset:         12
        .size:           4
        .value_kind:     by_value
      - .offset:         16
        .size:           8
        .value_kind:     by_value
      - .actual_access:  read_only
        .address_space:  global
        .offset:         24
        .size:           8
        .value_kind:     global_buffer
      - .actual_access:  read_only
        .address_space:  global
        .offset:         32
        .size:           8
        .value_kind:     global_buffer
      - .actual_access:  read_only
        .address_space:  global
        .offset:         40
        .size:           8
        .value_kind:     global_buffer
      - .offset:         48
        .size:           4
        .value_kind:     by_value
      - .offset:         52
        .size:           4
        .value_kind:     by_value
      - .actual_access:  read_only
        .address_space:  global
        .offset:         56
        .size:           8
        .value_kind:     global_buffer
      - .offset:         64
        .size:           8
        .value_kind:     by_value
      - .offset:         72
        .size:           8
        .value_kind:     by_value
      - .address_space:  global
        .offset:         80
        .size:           8
        .value_kind:     global_buffer
      - .offset:         88
        .size:           8
        .value_kind:     by_value
      - .offset:         96
        .size:           4
        .value_kind:     by_value
      - .offset:         100
        .size:           1
        .value_kind:     by_value
    .group_segment_fixed_size: 24576
    .kernarg_segment_align: 8
    .kernarg_segment_size: 104
    .language:       OpenCL C
    .language_version:
      - 2
      - 0
    .max_flat_workgroup_size: 1024
    .name:           _ZN9rocsparseL33gebsrmm_large_blockdim_kernel_extILi32ELi32ELi2E21rocsparse_complex_numIfEEEv20rocsparse_direction_20rocsparse_operation_iiNS_24const_host_device_scalarIT2_EEPKiS9_PKS6_iiSB_lS7_PS6_l21rocsparse_index_base_b
    .private_segment_fixed_size: 0
    .sgpr_count:     57
    .sgpr_spill_count: 0
    .symbol:         _ZN9rocsparseL33gebsrmm_large_blockdim_kernel_extILi32ELi32ELi2E21rocsparse_complex_numIfEEEv20rocsparse_direction_20rocsparse_operation_iiNS_24const_host_device_scalarIT2_EEPKiS9_PKS6_iiSB_lS7_PS6_l21rocsparse_index_base_b.kd
    .uniform_work_group_size: 1
    .uses_dynamic_stack: false
    .vgpr_count:     76
    .vgpr_spill_count: 0
    .wavefront_size: 64
  - .agpr_count:     0
    .args:
      - .offset:         0
        .size:           4
        .value_kind:     by_value
      - .offset:         4
        .size:           4
        .value_kind:     by_value
      - .offset:         8
        .size:           4
        .value_kind:     by_value
      - .offset:         12
        .size:           4
        .value_kind:     by_value
      - .offset:         16
        .size:           16
        .value_kind:     by_value
      - .actual_access:  read_only
        .address_space:  global
        .offset:         32
        .size:           8
        .value_kind:     global_buffer
      - .actual_access:  read_only
        .address_space:  global
        .offset:         40
        .size:           8
        .value_kind:     global_buffer
      - .actual_access:  read_only
        .address_space:  global
        .offset:         48
        .size:           8
        .value_kind:     global_buffer
      - .offset:         56
        .size:           4
        .value_kind:     by_value
      - .offset:         60
        .size:           4
        .value_kind:     by_value
      - .actual_access:  read_only
        .address_space:  global
        .offset:         64
        .size:           8
        .value_kind:     global_buffer
      - .offset:         72
        .size:           8
        .value_kind:     by_value
      - .offset:         80
        .size:           16
        .value_kind:     by_value
      - .address_space:  global
        .offset:         96
        .size:           8
        .value_kind:     global_buffer
      - .offset:         104
        .size:           8
        .value_kind:     by_value
      - .offset:         112
        .size:           4
        .value_kind:     by_value
      - .offset:         116
        .size:           1
        .value_kind:     by_value
    .group_segment_fixed_size: 3072
    .kernarg_segment_align: 8
    .kernarg_segment_size: 120
    .language:       OpenCL C
    .language_version:
      - 2
      - 0
    .max_flat_workgroup_size: 64
    .name:           _ZN9rocsparseL33gebsrmm_large_blockdim_kernel_extILi8ELi8ELi2E21rocsparse_complex_numIdEEEv20rocsparse_direction_20rocsparse_operation_iiNS_24const_host_device_scalarIT2_EEPKiS9_PKS6_iiSB_lS7_PS6_l21rocsparse_index_base_b
    .private_segment_fixed_size: 24
    .sgpr_count:     63
    .sgpr_spill_count: 0
    .symbol:         _ZN9rocsparseL33gebsrmm_large_blockdim_kernel_extILi8ELi8ELi2E21rocsparse_complex_numIdEEEv20rocsparse_direction_20rocsparse_operation_iiNS_24const_host_device_scalarIT2_EEPKiS9_PKS6_iiSB_lS7_PS6_l21rocsparse_index_base_b.kd
    .uniform_work_group_size: 1
    .uses_dynamic_stack: false
    .vgpr_count:     100
    .vgpr_spill_count: 0
    .wavefront_size: 64
  - .agpr_count:     0
    .args:
      - .offset:         0
        .size:           4
        .value_kind:     by_value
      - .offset:         4
        .size:           4
        .value_kind:     by_value
      - .offset:         8
        .size:           4
        .value_kind:     by_value
      - .offset:         12
        .size:           4
        .value_kind:     by_value
      - .offset:         16
        .size:           16
        .value_kind:     by_value
      - .actual_access:  read_only
        .address_space:  global
        .offset:         32
        .size:           8
        .value_kind:     global_buffer
      - .actual_access:  read_only
        .address_space:  global
        .offset:         40
        .size:           8
        .value_kind:     global_buffer
      - .actual_access:  read_only
        .address_space:  global
        .offset:         48
        .size:           8
        .value_kind:     global_buffer
      - .offset:         56
        .size:           4
        .value_kind:     by_value
      - .offset:         60
        .size:           4
        .value_kind:     by_value
      - .actual_access:  read_only
        .address_space:  global
        .offset:         64
        .size:           8
        .value_kind:     global_buffer
      - .offset:         72
        .size:           8
        .value_kind:     by_value
      - .offset:         80
        .size:           16
        .value_kind:     by_value
      - .address_space:  global
        .offset:         96
        .size:           8
        .value_kind:     global_buffer
      - .offset:         104
        .size:           8
        .value_kind:     by_value
      - .offset:         112
        .size:           4
        .value_kind:     by_value
      - .offset:         116
        .size:           1
        .value_kind:     by_value
    .group_segment_fixed_size: 12288
    .kernarg_segment_align: 8
    .kernarg_segment_size: 120
    .language:       OpenCL C
    .language_version:
      - 2
      - 0
    .max_flat_workgroup_size: 256
    .name:           _ZN9rocsparseL33gebsrmm_large_blockdim_kernel_extILi16ELi16ELi2E21rocsparse_complex_numIdEEEv20rocsparse_direction_20rocsparse_operation_iiNS_24const_host_device_scalarIT2_EEPKiS9_PKS6_iiSB_lS7_PS6_l21rocsparse_index_base_b
    .private_segment_fixed_size: 24
    .sgpr_count:     63
    .sgpr_spill_count: 0
    .symbol:         _ZN9rocsparseL33gebsrmm_large_blockdim_kernel_extILi16ELi16ELi2E21rocsparse_complex_numIdEEEv20rocsparse_direction_20rocsparse_operation_iiNS_24const_host_device_scalarIT2_EEPKiS9_PKS6_iiSB_lS7_PS6_l21rocsparse_index_base_b.kd
    .uniform_work_group_size: 1
    .uses_dynamic_stack: false
    .vgpr_count:     100
    .vgpr_spill_count: 0
    .wavefront_size: 64
  - .agpr_count:     0
    .args:
      - .offset:         0
        .size:           4
        .value_kind:     by_value
      - .offset:         4
        .size:           4
        .value_kind:     by_value
      - .offset:         8
        .size:           4
        .value_kind:     by_value
      - .offset:         12
        .size:           4
        .value_kind:     by_value
      - .offset:         16
        .size:           16
        .value_kind:     by_value
      - .actual_access:  read_only
        .address_space:  global
        .offset:         32
        .size:           8
        .value_kind:     global_buffer
      - .actual_access:  read_only
        .address_space:  global
        .offset:         40
        .size:           8
        .value_kind:     global_buffer
      - .actual_access:  read_only
        .address_space:  global
        .offset:         48
        .size:           8
        .value_kind:     global_buffer
      - .offset:         56
        .size:           4
        .value_kind:     by_value
      - .offset:         60
        .size:           4
        .value_kind:     by_value
      - .actual_access:  read_only
        .address_space:  global
        .offset:         64
        .size:           8
        .value_kind:     global_buffer
      - .offset:         72
        .size:           8
        .value_kind:     by_value
      - .offset:         80
        .size:           16
        .value_kind:     by_value
      - .address_space:  global
        .offset:         96
        .size:           8
        .value_kind:     global_buffer
      - .offset:         104
        .size:           8
        .value_kind:     by_value
      - .offset:         112
        .size:           4
        .value_kind:     by_value
      - .offset:         116
        .size:           1
        .value_kind:     by_value
    .group_segment_fixed_size: 65536
    .kernarg_segment_align: 8
    .kernarg_segment_size: 120
    .language:       OpenCL C
    .language_version:
      - 2
      - 0
    .max_flat_workgroup_size: 1024
    .name:           _ZN9rocsparseL33gebsrmm_large_blockdim_kernel_extILi32ELi32ELi2E21rocsparse_complex_numIdEEEv20rocsparse_direction_20rocsparse_operation_iiNS_24const_host_device_scalarIT2_EEPKiS9_PKS6_iiSB_lS7_PS6_l21rocsparse_index_base_b
    .private_segment_fixed_size: 0
    .sgpr_count:     57
    .sgpr_spill_count: 0
    .symbol:         _ZN9rocsparseL33gebsrmm_large_blockdim_kernel_extILi32ELi32ELi2E21rocsparse_complex_numIdEEEv20rocsparse_direction_20rocsparse_operation_iiNS_24const_host_device_scalarIT2_EEPKiS9_PKS6_iiSB_lS7_PS6_l21rocsparse_index_base_b.kd
    .uniform_work_group_size: 1
    .uses_dynamic_stack: false
    .vgpr_count:     100
    .vgpr_spill_count: 0
    .wavefront_size: 64
amdhsa.target:   amdgcn-amd-amdhsa--gfx90a
amdhsa.version:
  - 1
  - 2
...

	.end_amdgpu_metadata
